;; amdgpu-corpus repo=ROCm/rocFFT kind=compiled arch=gfx90a opt=O3
	.text
	.amdgcn_target "amdgcn-amd-amdhsa--gfx90a"
	.amdhsa_code_object_version 6
	.protected	fft_rtc_fwd_len2016_factors_2_2_2_2_2_3_3_7_wgs_224_tpt_112_halfLds_sp_op_CI_CI_unitstride_sbrr_dirReg ; -- Begin function fft_rtc_fwd_len2016_factors_2_2_2_2_2_3_3_7_wgs_224_tpt_112_halfLds_sp_op_CI_CI_unitstride_sbrr_dirReg
	.globl	fft_rtc_fwd_len2016_factors_2_2_2_2_2_3_3_7_wgs_224_tpt_112_halfLds_sp_op_CI_CI_unitstride_sbrr_dirReg
	.p2align	8
	.type	fft_rtc_fwd_len2016_factors_2_2_2_2_2_3_3_7_wgs_224_tpt_112_halfLds_sp_op_CI_CI_unitstride_sbrr_dirReg,@function
fft_rtc_fwd_len2016_factors_2_2_2_2_2_3_3_7_wgs_224_tpt_112_halfLds_sp_op_CI_CI_unitstride_sbrr_dirReg: ; @fft_rtc_fwd_len2016_factors_2_2_2_2_2_3_3_7_wgs_224_tpt_112_halfLds_sp_op_CI_CI_unitstride_sbrr_dirReg
; %bb.0:
	s_load_dwordx4 s[12:15], s[4:5], 0x58
	s_load_dwordx4 s[8:11], s[4:5], 0x0
	;; [unrolled: 1-line block ×3, first 2 shown]
	v_mul_u32_u24_e32 v1, 0x24a, v0
	v_lshrrev_b32_e32 v1, 16, v1
	v_mov_b32_e32 v8, 0
	s_waitcnt lgkmcnt(0)
	v_cmp_lt_u64_e64 s[0:1], s[10:11], 2
	v_lshl_add_u32 v10, s6, 1, v1
	v_mov_b32_e32 v11, v8
	s_and_b64 vcc, exec, s[0:1]
	v_pk_mov_b32 v[6:7], 0, 0
	s_cbranch_vccnz .LBB0_8
; %bb.1:
	s_load_dwordx2 s[0:1], s[4:5], 0x10
	s_add_u32 s2, s18, 8
	s_addc_u32 s3, s19, 0
	s_add_u32 s6, s16, 8
	s_addc_u32 s7, s17, 0
	s_waitcnt lgkmcnt(0)
	s_add_u32 s20, s0, 8
	v_pk_mov_b32 v[6:7], 0, 0
	s_addc_u32 s21, s1, 0
	s_mov_b64 s[22:23], 1
	v_pk_mov_b32 v[2:3], v[6:7], v[6:7] op_sel:[0,1]
.LBB0_2:                                ; =>This Inner Loop Header: Depth=1
	s_load_dwordx2 s[24:25], s[20:21], 0x0
                                        ; implicit-def: $vgpr4_vgpr5
	s_waitcnt lgkmcnt(0)
	v_or_b32_e32 v9, s25, v11
	v_cmp_ne_u64_e32 vcc, 0, v[8:9]
	s_and_saveexec_b64 s[0:1], vcc
	s_xor_b64 s[26:27], exec, s[0:1]
	s_cbranch_execz .LBB0_4
; %bb.3:                                ;   in Loop: Header=BB0_2 Depth=1
	v_cvt_f32_u32_e32 v4, s24
	v_cvt_f32_u32_e32 v5, s25
	s_sub_u32 s0, 0, s24
	s_subb_u32 s1, 0, s25
	v_mac_f32_e32 v4, 0x4f800000, v5
	v_rcp_f32_e32 v4, v4
	v_mul_f32_e32 v4, 0x5f7ffffc, v4
	v_mul_f32_e32 v5, 0x2f800000, v4
	v_trunc_f32_e32 v5, v5
	v_mac_f32_e32 v4, 0xcf800000, v5
	v_cvt_u32_f32_e32 v5, v5
	v_cvt_u32_f32_e32 v4, v4
	v_mul_lo_u32 v9, s0, v5
	v_mul_hi_u32 v13, s0, v4
	v_mul_lo_u32 v12, s1, v4
	v_add_u32_e32 v9, v13, v9
	v_mul_lo_u32 v14, s0, v4
	v_add_u32_e32 v9, v9, v12
	v_mul_hi_u32 v13, v4, v14
	v_mul_lo_u32 v15, v4, v9
	v_mul_hi_u32 v12, v4, v9
	v_add_co_u32_e32 v13, vcc, v13, v15
	v_addc_co_u32_e32 v12, vcc, 0, v12, vcc
	v_mul_hi_u32 v16, v5, v14
	v_mul_lo_u32 v14, v5, v14
	v_add_co_u32_e32 v13, vcc, v13, v14
	v_mul_hi_u32 v15, v5, v9
	v_addc_co_u32_e32 v12, vcc, v12, v16, vcc
	v_addc_co_u32_e32 v13, vcc, 0, v15, vcc
	v_mul_lo_u32 v9, v5, v9
	v_add_co_u32_e32 v9, vcc, v12, v9
	v_addc_co_u32_e32 v12, vcc, 0, v13, vcc
	v_add_co_u32_e32 v4, vcc, v4, v9
	v_addc_co_u32_e32 v5, vcc, v5, v12, vcc
	v_mul_lo_u32 v9, s0, v5
	v_mul_hi_u32 v12, s0, v4
	v_add_u32_e32 v9, v12, v9
	v_mul_lo_u32 v12, s1, v4
	v_add_u32_e32 v9, v9, v12
	v_mul_lo_u32 v13, s0, v4
	v_mul_hi_u32 v14, v5, v13
	v_mul_lo_u32 v15, v5, v13
	v_mul_lo_u32 v17, v4, v9
	v_mul_hi_u32 v13, v4, v13
	v_mul_hi_u32 v16, v4, v9
	v_add_co_u32_e32 v13, vcc, v13, v17
	v_addc_co_u32_e32 v16, vcc, 0, v16, vcc
	v_add_co_u32_e32 v13, vcc, v13, v15
	v_mul_hi_u32 v12, v5, v9
	v_addc_co_u32_e32 v13, vcc, v16, v14, vcc
	v_addc_co_u32_e32 v12, vcc, 0, v12, vcc
	v_mul_lo_u32 v9, v5, v9
	v_add_co_u32_e32 v9, vcc, v13, v9
	v_addc_co_u32_e32 v12, vcc, 0, v12, vcc
	v_add_co_u32_e32 v9, vcc, v4, v9
	v_addc_co_u32_e32 v12, vcc, v5, v12, vcc
	v_mad_u64_u32 v[4:5], s[0:1], v10, v12, 0
	v_mul_hi_u32 v13, v10, v9
	v_add_co_u32_e32 v14, vcc, v13, v4
	v_addc_co_u32_e32 v15, vcc, 0, v5, vcc
	v_mad_u64_u32 v[4:5], s[0:1], v11, v12, 0
	v_mad_u64_u32 v[12:13], s[0:1], v11, v9, 0
	v_add_co_u32_e32 v9, vcc, v14, v12
	v_addc_co_u32_e32 v9, vcc, v15, v13, vcc
	v_addc_co_u32_e32 v5, vcc, 0, v5, vcc
	v_add_co_u32_e32 v9, vcc, v9, v4
	v_addc_co_u32_e32 v12, vcc, 0, v5, vcc
	v_mul_lo_u32 v13, s25, v9
	v_mul_lo_u32 v14, s24, v12
	v_mad_u64_u32 v[4:5], s[0:1], s24, v9, 0
	v_add3_u32 v5, v5, v14, v13
	v_sub_u32_e32 v13, v11, v5
	v_mov_b32_e32 v14, s25
	v_sub_co_u32_e32 v4, vcc, v10, v4
	v_subb_co_u32_e64 v13, s[0:1], v13, v14, vcc
	v_subrev_co_u32_e64 v14, s[0:1], s24, v4
	v_subbrev_co_u32_e64 v13, s[0:1], 0, v13, s[0:1]
	v_cmp_le_u32_e64 s[0:1], s25, v13
	v_cndmask_b32_e64 v15, 0, -1, s[0:1]
	v_cmp_le_u32_e64 s[0:1], s24, v14
	v_cndmask_b32_e64 v14, 0, -1, s[0:1]
	v_cmp_eq_u32_e64 s[0:1], s25, v13
	v_cndmask_b32_e64 v13, v15, v14, s[0:1]
	v_add_co_u32_e64 v14, s[0:1], 2, v9
	v_addc_co_u32_e64 v15, s[0:1], 0, v12, s[0:1]
	v_add_co_u32_e64 v16, s[0:1], 1, v9
	v_addc_co_u32_e64 v17, s[0:1], 0, v12, s[0:1]
	v_subb_co_u32_e32 v5, vcc, v11, v5, vcc
	v_cmp_ne_u32_e64 s[0:1], 0, v13
	v_cmp_le_u32_e32 vcc, s25, v5
	v_cndmask_b32_e64 v13, v17, v15, s[0:1]
	v_cndmask_b32_e64 v15, 0, -1, vcc
	v_cmp_le_u32_e32 vcc, s24, v4
	v_cndmask_b32_e64 v4, 0, -1, vcc
	v_cmp_eq_u32_e32 vcc, s25, v5
	v_cndmask_b32_e32 v4, v15, v4, vcc
	v_cmp_ne_u32_e32 vcc, 0, v4
	v_cndmask_b32_e64 v4, v16, v14, s[0:1]
	v_cndmask_b32_e32 v5, v12, v13, vcc
	v_cndmask_b32_e32 v4, v9, v4, vcc
.LBB0_4:                                ;   in Loop: Header=BB0_2 Depth=1
	s_andn2_saveexec_b64 s[0:1], s[26:27]
	s_cbranch_execz .LBB0_6
; %bb.5:                                ;   in Loop: Header=BB0_2 Depth=1
	v_cvt_f32_u32_e32 v4, s24
	s_sub_i32 s26, 0, s24
	v_rcp_iflag_f32_e32 v4, v4
	v_mul_f32_e32 v4, 0x4f7ffffe, v4
	v_cvt_u32_f32_e32 v4, v4
	v_mul_lo_u32 v5, s26, v4
	v_mul_hi_u32 v5, v4, v5
	v_add_u32_e32 v4, v4, v5
	v_mul_hi_u32 v4, v10, v4
	v_mul_lo_u32 v5, v4, s24
	v_sub_u32_e32 v5, v10, v5
	v_add_u32_e32 v9, 1, v4
	v_subrev_u32_e32 v12, s24, v5
	v_cmp_le_u32_e32 vcc, s24, v5
	v_cndmask_b32_e32 v5, v5, v12, vcc
	v_cndmask_b32_e32 v4, v4, v9, vcc
	v_add_u32_e32 v9, 1, v4
	v_cmp_le_u32_e32 vcc, s24, v5
	v_cndmask_b32_e32 v4, v4, v9, vcc
	v_mov_b32_e32 v5, v8
.LBB0_6:                                ;   in Loop: Header=BB0_2 Depth=1
	s_or_b64 exec, exec, s[0:1]
	v_mad_u64_u32 v[12:13], s[0:1], v4, s24, 0
	s_load_dwordx2 s[0:1], s[6:7], 0x0
	v_mul_lo_u32 v9, v5, s24
	v_mul_lo_u32 v14, v4, s25
	s_load_dwordx2 s[24:25], s[2:3], 0x0
	s_add_u32 s22, s22, 1
	v_add3_u32 v9, v13, v14, v9
	v_sub_co_u32_e32 v10, vcc, v10, v12
	s_addc_u32 s23, s23, 0
	v_subb_co_u32_e32 v9, vcc, v11, v9, vcc
	s_add_u32 s2, s2, 8
	s_waitcnt lgkmcnt(0)
	v_mul_lo_u32 v11, s0, v9
	v_mul_lo_u32 v12, s1, v10
	v_mad_u64_u32 v[6:7], s[0:1], s0, v10, v[6:7]
	s_addc_u32 s3, s3, 0
	v_add3_u32 v7, v12, v7, v11
	v_mul_lo_u32 v9, s24, v9
	v_mul_lo_u32 v11, s25, v10
	v_mad_u64_u32 v[2:3], s[0:1], s24, v10, v[2:3]
	s_add_u32 s6, s6, 8
	v_add3_u32 v3, v11, v3, v9
	s_addc_u32 s7, s7, 0
	v_pk_mov_b32 v[10:11], s[10:11], s[10:11] op_sel:[0,1]
	s_add_u32 s20, s20, 8
	v_cmp_ge_u64_e32 vcc, s[22:23], v[10:11]
	s_addc_u32 s21, s21, 0
	s_cbranch_vccnz .LBB0_9
; %bb.7:                                ;   in Loop: Header=BB0_2 Depth=1
	v_pk_mov_b32 v[10:11], v[4:5], v[4:5] op_sel:[0,1]
	s_branch .LBB0_2
.LBB0_8:
	v_pk_mov_b32 v[2:3], v[6:7], v[6:7] op_sel:[0,1]
	v_pk_mov_b32 v[4:5], v[10:11], v[10:11] op_sel:[0,1]
.LBB0_9:
	s_load_dwordx2 s[0:1], s[4:5], 0x28
	s_lshl_b64 s[6:7], s[10:11], 3
	s_add_u32 s2, s18, s6
	s_addc_u32 s3, s19, s7
                                        ; implicit-def: $sgpr10_sgpr11
                                        ; implicit-def: $vgpr52
                                        ; implicit-def: $vgpr45
	s_waitcnt lgkmcnt(0)
	v_cmp_gt_u64_e32 vcc, s[0:1], v[4:5]
	v_cmp_le_u64_e64 s[0:1], s[0:1], v[4:5]
	s_and_saveexec_b64 s[4:5], s[0:1]
	s_xor_b64 s[0:1], exec, s[4:5]
; %bb.10:
	s_mov_b32 s4, 0x2492493
	v_mul_hi_u32 v6, v0, s4
	v_mul_u32_u24_e32 v6, 0x70, v6
	v_sub_u32_e32 v52, v0, v6
	v_or_b32_e32 v45, 0x380, v52
	s_mov_b64 s[10:11], 0
                                        ; implicit-def: $vgpr0
                                        ; implicit-def: $vgpr6_vgpr7
; %bb.11:
	s_or_saveexec_b64 s[4:5], s[0:1]
	v_pk_mov_b32 v[40:41], s[10:11], s[10:11] op_sel:[0,1]
	v_pk_mov_b32 v[10:11], s[10:11], s[10:11] op_sel:[0,1]
	;; [unrolled: 1-line block ×9, first 2 shown]
                                        ; implicit-def: $vgpr42
                                        ; implicit-def: $vgpr22
                                        ; implicit-def: $vgpr34
                                        ; implicit-def: $vgpr36
                                        ; implicit-def: $vgpr30
                                        ; implicit-def: $vgpr32
                                        ; implicit-def: $vgpr38
                                        ; implicit-def: $vgpr24
                                        ; implicit-def: $vgpr26
	s_xor_b64 exec, exec, s[4:5]
	s_cbranch_execz .LBB0_13
; %bb.12:
	s_add_u32 s0, s16, s6
	s_addc_u32 s1, s17, s7
	s_load_dwordx2 s[0:1], s[0:1], 0x0
	s_mov_b32 s6, 0x2492493
	v_lshlrev_b64 v[6:7], 3, v[6:7]
	s_waitcnt lgkmcnt(0)
	v_mul_lo_u32 v10, s1, v4
	v_mul_lo_u32 v11, s0, v5
	v_mad_u64_u32 v[8:9], s[0:1], s0, v4, 0
	v_add3_u32 v9, v9, v11, v10
	v_mul_hi_u32 v10, v0, s6
	v_mul_u32_u24_e32 v10, 0x70, v10
	v_lshlrev_b64 v[8:9], 3, v[8:9]
	v_sub_u32_e32 v52, v0, v10
	v_mov_b32_e32 v0, s13
	v_add_co_u32_e64 v8, s[0:1], s12, v8
	v_addc_co_u32_e64 v0, s[0:1], v0, v9, s[0:1]
	v_add_co_u32_e64 v30, s[0:1], v8, v6
	v_addc_co_u32_e64 v0, s[0:1], v0, v7, s[0:1]
	v_lshlrev_b32_e32 v31, 3, v52
	v_add_co_u32_e64 v6, s[0:1], v30, v31
	v_addc_co_u32_e64 v7, s[0:1], 0, v0, s[0:1]
	s_movk_i32 s0, 0x1000
	v_add_co_u32_e64 v28, s[0:1], s0, v6
	v_addc_co_u32_e64 v29, s[0:1], 0, v7, s[0:1]
	s_movk_i32 s0, 0x2000
	;; [unrolled: 3-line block ×3, first 2 shown]
	v_add_co_u32_e64 v48, s[0:1], s0, v6
	global_load_dwordx2 v[40:41], v[6:7], off
	global_load_dwordx2 v[10:11], v[6:7], off offset:896
	global_load_dwordx2 v[12:13], v[6:7], off offset:1792
	global_load_dwordx2 v[8:9], v[6:7], off offset:2688
	global_load_dwordx2 v[42:43], v[28:29], off offset:3968
	global_load_dwordx2 v[26:27], v[46:47], off offset:768
	global_load_dwordx2 v[24:25], v[46:47], off offset:1664
	global_load_dwordx2 v[22:23], v[46:47], off offset:2560
	v_addc_co_u32_e64 v49, s[0:1], 0, v7, s[0:1]
	global_load_dwordx2 v[14:15], v[6:7], off offset:3584
	global_load_dwordx2 v[16:17], v[28:29], off offset:384
	;; [unrolled: 1-line block ×4, first 2 shown]
	v_or_b32_e32 v6, 0x3800, v31
	v_add_co_u32_e64 v6, s[0:1], v30, v6
	v_or_b32_e32 v45, 0x380, v52
	v_addc_co_u32_e64 v7, s[0:1], 0, v0, s[0:1]
	v_lshlrev_b32_e32 v28, 3, v45
	v_add_co_u32_e64 v50, s[0:1], v30, v28
	v_addc_co_u32_e64 v51, s[0:1], 0, v0, s[0:1]
	global_load_dwordx2 v[30:31], v[6:7], off
	global_load_dwordx2 v[28:29], v[50:51], off
	global_load_dwordx2 v[34:35], v[46:47], off offset:3456
	global_load_dwordx2 v[36:37], v[48:49], off offset:256
	;; [unrolled: 1-line block ×4, first 2 shown]
.LBB0_13:
	s_or_b64 exec, exec, s[4:5]
	v_and_b32_e32 v0, 1, v1
	v_mov_b32_e32 v1, 0x1f80
	v_cmp_eq_u32_e64 s[0:1], 1, v0
	v_cndmask_b32_e64 v44, 0, v1, s[0:1]
	s_waitcnt vmcnt(13)
	v_sub_f32_e32 v43, v41, v43
	v_sub_f32_e32 v7, v40, v42
	v_fma_f32 v42, v41, 2.0, -v43
	s_waitcnt vmcnt(12)
	v_sub_f32_e32 v41, v10, v26
	s_waitcnt vmcnt(11)
	v_sub_f32_e32 v47, v12, v24
	;; [unrolled: 2-line block ×6, first 2 shown]
	v_sub_f32_e32 v59, v20, v30
	v_add_u32_e32 v0, 0, v44
	v_add_u32_e32 v53, 0x70, v52
	;; [unrolled: 1-line block ×6, first 2 shown]
	v_fma_f32 v6, v40, 2.0, -v7
	v_fma_f32 v40, v10, 2.0, -v41
	;; [unrolled: 1-line block ×6, first 2 shown]
	v_lshl_add_u32 v8, v52, 3, v0
	v_lshl_add_u32 v10, v53, 3, v0
	;; [unrolled: 1-line block ×6, first 2 shown]
	v_add_u32_e32 v67, 0x310, v52
	v_lshlrev_b32_e32 v1, 2, v52
	v_fma_f32 v58, v20, 2.0, -v59
	s_waitcnt vmcnt(0)
	v_sub_f32_e32 v61, v28, v32
	ds_write_b64 v8, v[6:7]
	ds_write_b64 v10, v[40:41]
	ds_write_b64 v12, v[46:47]
	ds_write_b64 v62, v[48:49]
	ds_write_b64 v63, v[50:51]
	ds_write_b64 v64, v[54:55]
	v_add_u32_e32 v65, 0x2a0, v52
	v_lshl_add_u32 v68, v67, 3, v0
	v_add_u32_e32 v22, v0, v1
	v_add3_u32 v54, 0, v1, v44
	v_lshlrev_b32_e32 v1, 2, v30
	v_fma_f32 v56, v18, 2.0, -v57
	v_fma_f32 v60, v28, 2.0, -v61
	v_lshl_add_u32 v66, v65, 3, v0
	ds_write_b64 v68, v[58:59]
	v_lshl_add_u32 v58, v45, 3, v0
	v_sub_u32_e32 v18, v64, v1
	v_lshlrev_b32_e32 v1, 2, v45
	s_load_dwordx2 s[4:5], s[2:3], 0x0
	ds_write_b64 v66, v[56:57]
	ds_write_b64 v58, v[60:61]
	s_waitcnt lgkmcnt(0)
	s_barrier
	v_add_u32_e32 v40, 0xe00, v54
	v_lshl_add_u32 v55, v24, 2, v0
	v_sub_u32_e32 v32, v58, v1
	v_add_u32_e32 v1, 0x1200, v54
	v_lshl_add_u32 v26, v38, 2, v0
	v_lshl_add_u32 v28, v36, 2, v0
	v_add_u32_e32 v34, 0x1600, v54
	ds_read_b32 v59, v22
	ds_read_b32 v60, v26
	;; [unrolled: 1-line block ×4, first 2 shown]
	v_add_u32_e32 v20, 0xa00, v54
	v_add_u32_e32 v41, 0x1a00, v54
	ds_read_b32 v70, v54 offset:7616
	ds_read_b32 v71, v54 offset:448
	ds_read_b32 v72, v55
	ds_read_b32 v73, v32
	ds_read2_b32 v[6:7], v40 offset0:112 offset1:224
	ds_read2_b32 v[46:47], v1 offset0:80 offset1:192
	;; [unrolled: 1-line block ×5, first 2 shown]
	s_waitcnt lgkmcnt(0)
	s_barrier
	ds_write_b64 v8, v[42:43]
	v_sub_f32_e32 v43, v11, v27
	v_fma_f32 v42, v11, 2.0, -v43
	v_sub_f32_e32 v11, v13, v25
	ds_write_b64 v10, v[42:43]
	v_fma_f32 v10, v13, 2.0, -v11
	ds_write_b64 v12, v[10:11]
	v_sub_f32_e32 v11, v9, v23
	v_fma_f32 v10, v9, 2.0, -v11
	v_sub_f32_e32 v9, v15, v35
	v_fma_f32 v8, v15, 2.0, -v9
	v_sub_f32_e32 v13, v17, v37
	v_sub_f32_e32 v15, v19, v39
	v_fma_f32 v12, v17, 2.0, -v13
	v_fma_f32 v14, v19, 2.0, -v15
	v_sub_f32_e32 v17, v21, v31
	v_sub_f32_e32 v43, v29, v33
	v_and_b32_e32 v19, 1, v52
	v_fma_f32 v16, v21, 2.0, -v17
	v_fma_f32 v42, v29, 2.0, -v43
	ds_write_b64 v62, v[10:11]
	ds_write_b64 v63, v[8:9]
	;; [unrolled: 1-line block ×6, first 2 shown]
	v_lshlrev_b32_e32 v8, 3, v19
	s_waitcnt lgkmcnt(0)
	s_barrier
	global_load_dwordx2 v[8:9], v8, s[8:9]
	ds_read2_b32 v[10:11], v40 offset0:112 offset1:224
	ds_read_b32 v21, v54 offset:7616
	ds_read_b32 v23, v54 offset:448
	ds_read_b32 v25, v55
	ds_read2_b32 v[12:13], v1 offset0:80 offset1:192
	ds_read2_b32 v[14:15], v34 offset0:48 offset1:160
	;; [unrolled: 1-line block ×4, first 2 shown]
	s_movk_i32 s0, 0xfc
	s_movk_i32 s1, 0x5fc
	s_mov_b32 s2, 0xaaab
	v_mov_b32_e32 v79, 0
	s_waitcnt vmcnt(0) lgkmcnt(7)
	v_mul_f32_e32 v27, v10, v9
	v_mul_f32_e32 v31, v7, v9
	v_fma_f32 v27, v6, v8, -v27
	v_mul_f32_e32 v29, v6, v9
	v_mul_f32_e32 v6, v11, v9
	v_fmac_f32_e32 v31, v11, v8
	v_mul_f32_e32 v35, v47, v9
	s_waitcnt lgkmcnt(2)
	v_mul_f32_e32 v11, v14, v9
	v_fmac_f32_e32 v29, v10, v8
	v_mul_f32_e32 v10, v13, v9
	v_fmac_f32_e32 v35, v13, v8
	v_fma_f32 v13, v48, v8, -v11
	v_mul_f32_e32 v11, v15, v9
	v_fma_f32 v39, v49, v8, -v11
	v_mul_f32_e32 v58, v49, v9
	s_waitcnt lgkmcnt(0)
	v_mul_f32_e32 v11, v42, v9
	v_fmac_f32_e32 v58, v15, v8
	v_fma_f32 v15, v56, v8, -v11
	v_mul_f32_e32 v62, v56, v9
	v_mul_f32_e32 v11, v43, v9
	v_fmac_f32_e32 v62, v42, v8
	v_fma_f32 v42, v57, v8, -v11
	v_mul_f32_e32 v63, v57, v9
	v_mul_f32_e32 v11, v21, v9
	v_fma_f32 v6, v7, v8, -v6
	v_mul_f32_e32 v7, v12, v9
	v_mul_f32_e32 v33, v46, v9
	;; [unrolled: 1-line block ×3, first 2 shown]
	v_fmac_f32_e32 v63, v43, v8
	v_fma_f32 v43, v70, v8, -v11
	v_mul_f32_e32 v64, v70, v9
	v_lshlrev_b32_e32 v11, 1, v52
	v_fma_f32 v7, v46, v8, -v7
	v_fmac_f32_e32 v33, v12, v8
	v_fma_f32 v10, v47, v8, -v10
	v_fmac_f32_e32 v37, v14, v8
	v_fmac_f32_e32 v64, v21, v8
	v_sub_f32_e32 v8, v59, v27
	v_and_or_b32 v12, v11, s0, v19
	v_fma_f32 v9, v59, 2.0, -v8
	v_lshl_add_u32 v27, v12, 2, v0
	s_movk_i32 s0, 0x1fc
	v_lshlrev_b32_e32 v12, 1, v53
	ds_read_b32 v21, v22
	ds_read_b32 v66, v26
	;; [unrolled: 1-line block ×5, first 2 shown]
	s_waitcnt lgkmcnt(0)
	s_barrier
	ds_write2_b32 v27, v9, v8 offset1:2
	v_sub_f32_e32 v6, v71, v6
	v_and_or_b32 v9, v12, s0, v19
	v_fma_f32 v8, v71, 2.0, -v6
	v_lshl_add_u32 v59, v9, 2, v0
	s_movk_i32 s0, 0x3fc
	v_lshlrev_b32_e32 v14, 1, v24
	ds_write2_b32 v59, v8, v6 offset1:2
	v_sub_f32_e32 v6, v72, v7
	v_and_or_b32 v8, v14, s0, v19
	v_fma_f32 v7, v72, 2.0, -v6
	v_lshl_add_u32 v71, v8, 2, v0
	ds_write2_b32 v71, v7, v6 offset1:2
	v_lshlrev_b32_e32 v6, 1, v38
	v_sub_f32_e32 v7, v60, v10
	v_and_or_b32 v9, v6, s0, v19
	v_fma_f32 v8, v60, 2.0, -v7
	v_lshl_add_u32 v60, v9, 2, v0
	ds_write2_b32 v60, v8, v7 offset1:2
	s_movk_i32 s0, 0x7fc
	v_lshlrev_b32_e32 v7, 1, v36
	v_sub_f32_e32 v8, v61, v13
	v_and_or_b32 v10, v7, s0, v19
	v_fma_f32 v9, v61, 2.0, -v8
	v_lshl_add_u32 v61, v10, 2, v0
	ds_write2_b32 v61, v9, v8 offset1:2
	v_lshlrev_b32_e32 v8, 1, v30
	v_sub_f32_e32 v9, v69, v39
	v_and_or_b32 v13, v8, s1, v19
	v_fma_f32 v10, v69, 2.0, -v9
	v_lshl_add_u32 v39, v13, 2, v0
	ds_write2_b32 v39, v10, v9 offset1:2
	v_lshlrev_b32_e32 v9, 1, v65
	v_sub_f32_e32 v10, v50, v15
	v_and_or_b32 v13, v9, s0, v19
	v_lshl_add_u32 v15, v13, 2, v0
	v_fma_f32 v13, v50, 2.0, -v10
	ds_write2_b32 v15, v13, v10 offset1:2
	v_lshlrev_b32_e32 v13, 1, v67
	v_lshlrev_b32_e32 v10, 1, v45
	v_sub_f32_e32 v29, v21, v29
	v_sub_f32_e32 v42, v51, v42
	v_sub_f32_e32 v43, v73, v43
	v_and_or_b32 v47, v13, s0, v19
	v_and_or_b32 v19, v10, s0, v19
	v_fma_f32 v21, v21, 2.0, -v29
	v_fma_f32 v45, v51, 2.0, -v42
	;; [unrolled: 1-line block ×3, first 2 shown]
	v_lshl_add_u32 v65, v47, 2, v0
	v_lshl_add_u32 v19, v19, 2, v0
	ds_write2_b32 v65, v45, v42 offset1:2
	ds_write2_b32 v19, v46, v43 offset1:2
	s_waitcnt lgkmcnt(0)
	s_barrier
	ds_read_b32 v45, v22
	ds_read_b32 v67, v26
	;; [unrolled: 1-line block ×4, first 2 shown]
	ds_read_b32 v73, v54 offset:7616
	ds_read_b32 v75, v54 offset:448
	ds_read_b32 v76, v55
	ds_read_b32 v77, v32
	ds_read2_b32 v[42:43], v40 offset0:112 offset1:224
	ds_read2_b32 v[46:47], v1 offset0:80 offset1:192
	;; [unrolled: 1-line block ×5, first 2 shown]
	s_waitcnt lgkmcnt(0)
	s_barrier
	ds_write2_b32 v27, v21, v29 offset1:2
	v_sub_f32_e32 v21, v23, v31
	v_fma_f32 v23, v23, 2.0, -v21
	ds_write2_b32 v59, v23, v21 offset1:2
	v_sub_f32_e32 v21, v25, v33
	v_fma_f32 v23, v25, 2.0, -v21
	;; [unrolled: 3-line block ×5, first 2 shown]
	v_sub_f32_e32 v25, v16, v62
	v_sub_f32_e32 v27, v17, v63
	;; [unrolled: 1-line block ×3, first 2 shown]
	v_fma_f32 v16, v16, 2.0, -v25
	v_fma_f32 v17, v17, 2.0, -v27
	;; [unrolled: 1-line block ×3, first 2 shown]
	ds_write2_b32 v39, v23, v21 offset1:2
	ds_write2_b32 v15, v16, v25 offset1:2
	ds_write2_b32 v65, v17, v27 offset1:2
	ds_write2_b32 v19, v31, v29 offset1:2
	v_and_b32_e32 v15, 3, v52
	v_lshlrev_b32_e32 v16, 3, v15
	s_waitcnt lgkmcnt(0)
	s_barrier
	global_load_dwordx2 v[16:17], v16, s[8:9] offset:16
	ds_read2_b32 v[58:59], v40 offset0:112 offset1:224
	ds_read2_b32 v[60:61], v1 offset0:80 offset1:192
	;; [unrolled: 1-line block ×3, first 2 shown]
	s_movk_i32 s0, 0xf8
	s_movk_i32 s1, 0x5f8
	s_waitcnt vmcnt(0) lgkmcnt(2)
	v_mul_f32_e32 v19, v58, v17
	v_mul_f32_e32 v23, v59, v17
	s_waitcnt lgkmcnt(0)
	v_mul_f32_e32 v35, v62, v17
	v_fma_f32 v19, v42, v16, -v19
	v_mul_f32_e32 v21, v42, v17
	v_fma_f32 v23, v43, v16, -v23
	v_mul_f32_e32 v25, v43, v17
	v_fma_f32 v35, v48, v16, -v35
	v_mul_f32_e32 v37, v48, v17
	ds_read2_b32 v[42:43], v41 offset0:16 offset1:128
	ds_read_b32 v48, v54 offset:7616
	v_fmac_f32_e32 v21, v58, v16
	v_fmac_f32_e32 v25, v59, v16
	v_mul_f32_e32 v27, v60, v17
	v_mul_f32_e32 v29, v46, v17
	;; [unrolled: 1-line block ×4, first 2 shown]
	v_fmac_f32_e32 v37, v62, v16
	v_mul_f32_e32 v59, v56, v17
	v_mul_f32_e32 v62, v73, v17
	v_fma_f32 v27, v46, v16, -v27
	v_fmac_f32_e32 v29, v60, v16
	v_mul_f32_e32 v31, v61, v17
	v_fmac_f32_e32 v33, v61, v16
	v_mul_f32_e32 v39, v63, v17
	v_fmac_f32_e32 v58, v63, v16
	ds_read_b32 v63, v55
	s_waitcnt lgkmcnt(2)
	v_mul_f32_e32 v46, v42, v17
	v_mul_f32_e32 v60, v57, v17
	v_fmac_f32_e32 v59, v42, v16
	ds_read_b32 v61, v54 offset:448
	s_waitcnt lgkmcnt(2)
	v_mul_f32_e32 v42, v48, v17
	v_fmac_f32_e32 v62, v48, v16
	v_sub_f32_e32 v19, v45, v19
	v_and_or_b32 v48, v11, s0, v15
	v_fma_f32 v31, v47, v16, -v31
	v_mul_f32_e32 v47, v43, v17
	v_fmac_f32_e32 v60, v43, v16
	v_fma_f32 v43, v45, 2.0, -v19
	v_lshl_add_u32 v70, v48, 2, v0
	s_movk_i32 s0, 0x1f8
	v_fma_f32 v39, v49, v16, -v39
	v_fma_f32 v46, v56, v16, -v46
	v_fma_f32 v47, v57, v16, -v47
	v_fma_f32 v42, v73, v16, -v42
	ds_read_b32 v45, v22
	ds_read_b32 v64, v26
	;; [unrolled: 1-line block ×5, first 2 shown]
	ds_read2_b32 v[16:17], v20 offset0:32 offset1:144
	s_waitcnt lgkmcnt(0)
	s_barrier
	ds_write2_b32 v70, v43, v19 offset1:4
	v_sub_f32_e32 v19, v75, v23
	v_and_or_b32 v43, v12, s0, v15
	v_fma_f32 v23, v75, 2.0, -v19
	v_lshl_add_u32 v71, v43, 2, v0
	s_movk_i32 s0, 0x3f8
	ds_write2_b32 v71, v23, v19 offset1:4
	v_sub_f32_e32 v19, v76, v27
	v_and_or_b32 v27, v14, s0, v15
	v_fma_f32 v23, v76, 2.0, -v19
	v_lshl_add_u32 v27, v27, 2, v0
	ds_write2_b32 v27, v23, v19 offset1:4
	v_sub_f32_e32 v19, v67, v31
	v_and_or_b32 v31, v6, s0, v15
	v_fma_f32 v23, v67, 2.0, -v19
	v_lshl_add_u32 v31, v31, 2, v0
	s_movk_i32 s0, 0x7f8
	ds_write2_b32 v31, v23, v19 offset1:4
	v_sub_f32_e32 v19, v69, v35
	v_and_or_b32 v35, v7, s0, v15
	v_fma_f32 v23, v69, 2.0, -v19
	v_lshl_add_u32 v35, v35, 2, v0
	ds_write2_b32 v35, v23, v19 offset1:4
	v_sub_f32_e32 v19, v72, v39
	v_and_or_b32 v39, v8, s1, v15
	v_fma_f32 v23, v72, 2.0, -v19
	v_lshl_add_u32 v39, v39, 2, v0
	ds_write2_b32 v39, v23, v19 offset1:4
	v_sub_f32_e32 v19, v50, v46
	v_and_or_b32 v23, v9, s0, v15
	v_lshl_add_u32 v23, v23, 2, v0
	v_fma_f32 v43, v50, 2.0, -v19
	ds_write2_b32 v23, v43, v19 offset1:4
	v_sub_f32_e32 v19, v45, v21
	v_sub_f32_e32 v43, v51, v47
	;; [unrolled: 1-line block ×3, first 2 shown]
	v_and_or_b32 v47, v13, s0, v15
	v_and_or_b32 v15, v10, s0, v15
	v_fma_f32 v21, v45, 2.0, -v19
	v_fma_f32 v45, v51, 2.0, -v43
	;; [unrolled: 1-line block ×3, first 2 shown]
	v_lshl_add_u32 v67, v47, 2, v0
	v_lshl_add_u32 v15, v15, 2, v0
	ds_write2_b32 v67, v45, v43 offset1:4
	ds_write2_b32 v15, v46, v42 offset1:4
	s_waitcnt lgkmcnt(0)
	s_barrier
	ds_read_b32 v45, v22
	ds_read_b32 v69, v26
	;; [unrolled: 1-line block ×4, first 2 shown]
	ds_read_b32 v74, v54 offset:7616
	ds_read_b32 v75, v54 offset:448
	ds_read_b32 v76, v55
	ds_read_b32 v77, v32
	ds_read2_b32 v[42:43], v40 offset0:112 offset1:224
	ds_read2_b32 v[46:47], v1 offset0:80 offset1:192
	;; [unrolled: 1-line block ×5, first 2 shown]
	s_waitcnt lgkmcnt(0)
	s_barrier
	ds_write2_b32 v70, v21, v19 offset1:4
	v_sub_f32_e32 v19, v61, v25
	v_fma_f32 v21, v61, 2.0, -v19
	ds_write2_b32 v71, v21, v19 offset1:4
	v_sub_f32_e32 v19, v63, v29
	v_fma_f32 v21, v63, 2.0, -v19
	;; [unrolled: 3-line block ×5, first 2 shown]
	v_sub_f32_e32 v25, v16, v59
	v_sub_f32_e32 v27, v17, v60
	;; [unrolled: 1-line block ×3, first 2 shown]
	v_fma_f32 v16, v16, 2.0, -v25
	v_fma_f32 v17, v17, 2.0, -v27
	;; [unrolled: 1-line block ×3, first 2 shown]
	ds_write2_b32 v39, v21, v19 offset1:4
	ds_write2_b32 v23, v16, v25 offset1:4
	ds_write2_b32 v67, v17, v27 offset1:4
	ds_write2_b32 v15, v31, v29 offset1:4
	v_and_b32_e32 v15, 7, v52
	v_lshlrev_b32_e32 v16, 3, v15
	s_waitcnt lgkmcnt(0)
	s_barrier
	global_load_dwordx2 v[16:17], v16, s[8:9] offset:48
	ds_read2_b32 v[58:59], v40 offset0:112 offset1:224
	ds_read2_b32 v[60:61], v1 offset0:80 offset1:192
	;; [unrolled: 1-line block ×3, first 2 shown]
	s_movk_i32 s0, 0xf0
	s_movk_i32 s1, 0x5f0
	s_waitcnt vmcnt(0) lgkmcnt(2)
	v_mul_f32_e32 v19, v58, v17
	v_mul_f32_e32 v23, v59, v17
	s_waitcnt lgkmcnt(0)
	v_mul_f32_e32 v35, v62, v17
	v_fma_f32 v19, v42, v16, -v19
	v_mul_f32_e32 v21, v42, v17
	v_fma_f32 v23, v43, v16, -v23
	v_mul_f32_e32 v25, v43, v17
	v_fma_f32 v35, v48, v16, -v35
	v_mul_f32_e32 v37, v48, v17
	ds_read2_b32 v[42:43], v41 offset0:16 offset1:128
	ds_read_b32 v48, v54 offset:7616
	v_fmac_f32_e32 v21, v58, v16
	v_fmac_f32_e32 v25, v59, v16
	v_mul_f32_e32 v27, v60, v17
	v_mul_f32_e32 v29, v46, v17
	;; [unrolled: 1-line block ×4, first 2 shown]
	v_fmac_f32_e32 v37, v62, v16
	v_mul_f32_e32 v59, v56, v17
	v_mul_f32_e32 v62, v74, v17
	v_fma_f32 v27, v46, v16, -v27
	v_fmac_f32_e32 v29, v60, v16
	v_mul_f32_e32 v31, v61, v17
	v_fmac_f32_e32 v33, v61, v16
	v_mul_f32_e32 v39, v63, v17
	v_fmac_f32_e32 v58, v63, v16
	ds_read_b32 v63, v55
	s_waitcnt lgkmcnt(2)
	v_mul_f32_e32 v46, v42, v17
	v_mul_f32_e32 v60, v57, v17
	v_fmac_f32_e32 v59, v42, v16
	ds_read_b32 v61, v54 offset:448
	s_waitcnt lgkmcnt(2)
	v_mul_f32_e32 v42, v48, v17
	v_fmac_f32_e32 v62, v48, v16
	v_sub_f32_e32 v19, v45, v19
	v_and_or_b32 v48, v11, s0, v15
	v_fma_f32 v31, v47, v16, -v31
	v_mul_f32_e32 v47, v43, v17
	v_fmac_f32_e32 v60, v43, v16
	v_fma_f32 v43, v45, 2.0, -v19
	v_lshl_add_u32 v68, v48, 2, v0
	s_movk_i32 s0, 0x1f0
	v_fma_f32 v39, v49, v16, -v39
	v_fma_f32 v46, v56, v16, -v46
	;; [unrolled: 1-line block ×4, first 2 shown]
	ds_read_b32 v45, v22
	ds_read_b32 v64, v26
	ds_read_b32 v65, v28
	ds_read_b32 v66, v18
	ds_read_b32 v67, v32
	ds_read2_b32 v[16:17], v20 offset0:32 offset1:144
	s_waitcnt lgkmcnt(0)
	s_barrier
	ds_write2_b32 v68, v43, v19 offset1:8
	v_sub_f32_e32 v19, v75, v23
	v_and_or_b32 v43, v12, s0, v15
	v_fma_f32 v23, v75, 2.0, -v19
	v_lshl_add_u32 v70, v43, 2, v0
	s_movk_i32 s0, 0x3f0
	ds_write2_b32 v70, v23, v19 offset1:8
	v_sub_f32_e32 v19, v76, v27
	v_and_or_b32 v27, v14, s0, v15
	v_fma_f32 v23, v76, 2.0, -v19
	v_lshl_add_u32 v27, v27, 2, v0
	ds_write2_b32 v27, v23, v19 offset1:8
	v_sub_f32_e32 v19, v69, v31
	v_and_or_b32 v31, v6, s0, v15
	v_fma_f32 v23, v69, 2.0, -v19
	v_lshl_add_u32 v31, v31, 2, v0
	s_movk_i32 s0, 0x7f0
	ds_write2_b32 v31, v23, v19 offset1:8
	v_sub_f32_e32 v19, v72, v35
	v_and_or_b32 v35, v7, s0, v15
	v_fma_f32 v23, v72, 2.0, -v19
	v_lshl_add_u32 v35, v35, 2, v0
	ds_write2_b32 v35, v23, v19 offset1:8
	v_sub_f32_e32 v19, v73, v39
	v_and_or_b32 v39, v8, s1, v15
	v_fma_f32 v23, v73, 2.0, -v19
	v_lshl_add_u32 v39, v39, 2, v0
	ds_write2_b32 v39, v23, v19 offset1:8
	v_sub_f32_e32 v19, v50, v46
	v_and_or_b32 v23, v9, s0, v15
	v_lshl_add_u32 v23, v23, 2, v0
	v_fma_f32 v43, v50, 2.0, -v19
	ds_write2_b32 v23, v43, v19 offset1:8
	v_sub_f32_e32 v19, v45, v21
	v_sub_f32_e32 v43, v51, v47
	;; [unrolled: 1-line block ×3, first 2 shown]
	v_and_or_b32 v47, v13, s0, v15
	v_and_or_b32 v15, v10, s0, v15
	v_fma_f32 v21, v45, 2.0, -v19
	v_fma_f32 v45, v51, 2.0, -v43
	;; [unrolled: 1-line block ×3, first 2 shown]
	v_lshl_add_u32 v69, v47, 2, v0
	v_lshl_add_u32 v15, v15, 2, v0
	ds_write2_b32 v69, v45, v43 offset1:8
	ds_write2_b32 v15, v46, v42 offset1:8
	s_waitcnt lgkmcnt(0)
	s_barrier
	ds_read_b32 v45, v22
	ds_read_b32 v71, v26
	;; [unrolled: 1-line block ×4, first 2 shown]
	ds_read_b32 v74, v54 offset:7616
	ds_read_b32 v75, v54 offset:448
	ds_read_b32 v76, v55
	ds_read_b32 v77, v32
	ds_read2_b32 v[42:43], v40 offset0:112 offset1:224
	ds_read2_b32 v[46:47], v1 offset0:80 offset1:192
	;; [unrolled: 1-line block ×5, first 2 shown]
	s_waitcnt lgkmcnt(0)
	s_barrier
	ds_write2_b32 v68, v21, v19 offset1:8
	v_sub_f32_e32 v19, v61, v25
	v_fma_f32 v21, v61, 2.0, -v19
	ds_write2_b32 v70, v21, v19 offset1:8
	v_sub_f32_e32 v19, v63, v29
	v_fma_f32 v21, v63, 2.0, -v19
	;; [unrolled: 3-line block ×5, first 2 shown]
	v_sub_f32_e32 v25, v16, v59
	v_sub_f32_e32 v27, v17, v60
	;; [unrolled: 1-line block ×3, first 2 shown]
	v_fma_f32 v16, v16, 2.0, -v25
	v_fma_f32 v17, v17, 2.0, -v27
	;; [unrolled: 1-line block ×3, first 2 shown]
	ds_write2_b32 v39, v21, v19 offset1:8
	ds_write2_b32 v23, v16, v25 offset1:8
	;; [unrolled: 1-line block ×4, first 2 shown]
	v_and_b32_e32 v15, 15, v52
	v_lshlrev_b32_e32 v16, 3, v15
	s_waitcnt lgkmcnt(0)
	s_barrier
	global_load_dwordx2 v[16:17], v16, s[8:9] offset:112
	ds_read2_b32 v[58:59], v40 offset0:112 offset1:224
	ds_read2_b32 v[60:61], v1 offset0:80 offset1:192
	;; [unrolled: 1-line block ×3, first 2 shown]
	s_movk_i32 s0, 0xe0
	v_and_or_b32 v11, v11, s0, v15
	ds_read_b32 v65, v55
	v_lshl_add_u32 v11, v11, 2, v0
	s_movk_i32 s0, 0x1e0
	v_and_or_b32 v12, v12, s0, v15
	v_lshl_add_u32 v12, v12, 2, v0
	s_movk_i32 s0, 0x3e0
	v_and_or_b32 v14, v14, s0, v15
	v_lshl_add_u32 v14, v14, 2, v0
	v_and_or_b32 v6, v6, s0, v15
	s_movk_i32 s0, 0x7e0
	s_movk_i32 s1, 0x5e0
	v_and_or_b32 v7, v7, s0, v15
	v_and_or_b32 v8, v8, s1, v15
	;; [unrolled: 1-line block ×5, first 2 shown]
	v_lshl_add_u32 v6, v6, 2, v0
	v_lshl_add_u32 v7, v7, 2, v0
	;; [unrolled: 1-line block ×6, first 2 shown]
	s_movk_i32 s0, 0x60
	s_movk_i32 s1, 0xab
	s_waitcnt vmcnt(0) lgkmcnt(3)
	v_mul_f32_e32 v19, v58, v17
	v_mul_f32_e32 v23, v59, v17
	v_fma_f32 v19, v42, v16, -v19
	v_mul_f32_e32 v21, v42, v17
	v_fma_f32 v23, v43, v16, -v23
	v_mul_f32_e32 v25, v43, v17
	ds_read2_b32 v[42:43], v41 offset0:16 offset1:128
	s_waitcnt lgkmcnt(3)
	v_mul_f32_e32 v31, v61, v17
	v_mul_f32_e32 v27, v60, v17
	v_fma_f32 v31, v47, v16, -v31
	v_mul_f32_e32 v33, v47, v17
	s_waitcnt lgkmcnt(2)
	v_mul_f32_e32 v39, v63, v17
	s_waitcnt lgkmcnt(0)
	v_mul_f32_e32 v47, v42, v17
	v_fma_f32 v27, v46, v16, -v27
	v_mul_f32_e32 v29, v46, v17
	v_fma_f32 v39, v49, v16, -v39
	;; [unrolled: 2-line block ×3, first 2 shown]
	v_mul_f32_e32 v49, v56, v17
	ds_read_b32 v56, v54 offset:7616
	v_mul_f32_e32 v37, v48, v17
	v_mul_f32_e32 v35, v62, v17
	v_fmac_f32_e32 v37, v62, v16
	v_mul_f32_e32 v62, v57, v17
	v_sub_f32_e32 v19, v45, v19
	v_fma_f32 v35, v48, v16, -v35
	v_fmac_f32_e32 v46, v63, v16
	v_mul_f32_e32 v48, v43, v17
	v_fmac_f32_e32 v49, v42, v16
	v_fmac_f32_e32 v62, v43, v16
	ds_read_b32 v63, v54 offset:448
	s_waitcnt lgkmcnt(1)
	v_mul_f32_e32 v42, v56, v17
	v_mul_f32_e32 v64, v74, v17
	v_fma_f32 v43, v45, 2.0, -v19
	v_fmac_f32_e32 v21, v58, v16
	v_fmac_f32_e32 v25, v59, v16
	;; [unrolled: 1-line block ×4, first 2 shown]
	v_fma_f32 v48, v57, v16, -v48
	v_fma_f32 v42, v74, v16, -v42
	v_fmac_f32_e32 v64, v56, v16
	ds_read_b32 v45, v22
	ds_read_b32 v66, v26
	;; [unrolled: 1-line block ×5, first 2 shown]
	ds_read2_b32 v[16:17], v20 offset0:32 offset1:144
	s_waitcnt lgkmcnt(0)
	s_barrier
	ds_write2_b32 v11, v43, v19 offset1:16
	v_sub_f32_e32 v19, v75, v23
	v_fma_f32 v23, v75, 2.0, -v19
	ds_write2_b32 v12, v23, v19 offset1:16
	v_sub_f32_e32 v19, v76, v27
	v_fma_f32 v23, v76, 2.0, -v19
	ds_write2_b32 v14, v23, v19 offset1:16
	v_sub_f32_e32 v19, v50, v47
	v_sub_f32_e32 v23, v51, v48
	;; [unrolled: 1-line block ×7, first 2 shown]
	v_fma_f32 v27, v50, 2.0, -v19
	v_fma_f32 v43, v51, 2.0, -v23
	;; [unrolled: 1-line block ×7, first 2 shown]
	ds_write2_b32 v6, v47, v31 offset1:16
	ds_write2_b32 v7, v48, v35 offset1:16
	;; [unrolled: 1-line block ×6, first 2 shown]
	s_waitcnt lgkmcnt(0)
	s_barrier
	ds_read2_b32 v[42:43], v20 offset0:32 offset1:144
	ds_read2_b32 v[50:51], v1 offset0:80 offset1:192
	;; [unrolled: 1-line block ×3, first 2 shown]
	ds_read_b32 v19, v22
	ds_read_b32 v23, v26
	;; [unrolled: 1-line block ×3, first 2 shown]
	ds_read_b32 v31, v54 offset:7616
	ds_read_b32 v35, v54 offset:448
	ds_read_b32 v39, v55
	ds_read_b32 v70, v32
	;; [unrolled: 1-line block ×3, first 2 shown]
	ds_read2_b32 v[58:59], v40 offset0:112 offset1:224
	ds_read2_b32 v[60:61], v41 offset0:16 offset1:128
	s_waitcnt lgkmcnt(0)
	s_barrier
	ds_write2_b32 v11, v45, v21 offset1:16
	v_sub_f32_e32 v11, v63, v25
	v_fma_f32 v15, v63, 2.0, -v11
	ds_write2_b32 v12, v15, v11 offset1:16
	v_sub_f32_e32 v11, v65, v29
	v_sub_f32_e32 v15, v66, v33
	v_fma_f32 v12, v65, 2.0, -v11
	v_fma_f32 v21, v66, 2.0, -v15
	v_sub_f32_e32 v25, v67, v37
	v_sub_f32_e32 v33, v68, v46
	;; [unrolled: 1-line block ×5, first 2 shown]
	v_fma_f32 v29, v67, 2.0, -v25
	v_fma_f32 v37, v68, 2.0, -v33
	;; [unrolled: 1-line block ×5, first 2 shown]
	ds_write2_b32 v14, v12, v11 offset1:16
	ds_write2_b32 v6, v21, v15 offset1:16
	;; [unrolled: 1-line block ×7, first 2 shown]
	v_and_b32_e32 v21, 31, v53
	v_lshlrev_b32_e32 v6, 4, v21
	s_waitcnt lgkmcnt(0)
	s_barrier
	global_load_dwordx4 v[6:9], v6, s[8:9] offset:240
	v_and_b32_e32 v25, 31, v38
	v_lshlrev_b32_e32 v10, 4, v25
	global_load_dwordx4 v[10:13], v10, s[8:9] offset:240
	v_and_b32_e32 v29, 31, v52
	v_lshlrev_b32_e32 v14, 4, v29
	;; [unrolled: 3-line block ×3, first 2 shown]
	global_load_dwordx4 v[46:49], v37, s[8:9] offset:240
	ds_read2_b32 v[62:63], v20 offset0:32 offset1:144
	ds_read2_b32 v[64:65], v34 offset0:48 offset1:160
	;; [unrolled: 1-line block ×3, first 2 shown]
	s_waitcnt vmcnt(3) lgkmcnt(2)
	v_mul_f32_e32 v37, v63, v7
	v_fma_f32 v37, v43, v6, -v37
	v_mul_f32_e32 v43, v43, v7
	v_fmac_f32_e32 v43, v63, v6
	s_waitcnt lgkmcnt(1)
	v_mul_f32_e32 v6, v64, v9
	v_fma_f32 v45, v56, v8, -v6
	ds_read2_b32 v[6:7], v41 offset0:16 offset1:128
	v_mul_f32_e32 v9, v56, v9
	v_fmac_f32_e32 v9, v64, v8
	s_waitcnt vmcnt(2) lgkmcnt(1)
	v_mul_f32_e32 v8, v66, v11
	v_fma_f32 v56, v58, v10, -v8
	s_waitcnt lgkmcnt(0)
	v_mul_f32_e32 v8, v6, v13
	v_fma_f32 v63, v60, v12, -v8
	v_mul_f32_e32 v60, v60, v13
	v_fmac_f32_e32 v60, v6, v12
	s_waitcnt vmcnt(1)
	v_mul_f32_e32 v6, v62, v15
	v_mul_f32_e32 v58, v58, v11
	v_fma_f32 v8, v42, v14, -v6
	v_mul_f32_e32 v6, v65, v17
	v_fmac_f32_e32 v58, v66, v10
	v_mul_f32_e32 v10, v42, v15
	v_fma_f32 v42, v57, v16, -v6
	v_mul_f32_e32 v6, v67, v15
	v_fmac_f32_e32 v10, v62, v14
	v_fma_f32 v62, v59, v14, -v6
	v_mul_f32_e32 v6, v7, v17
	ds_read_b32 v11, v32
	v_mul_f32_e32 v57, v57, v17
	v_fma_f32 v64, v61, v16, -v6
	v_mul_f32_e32 v61, v61, v17
	v_fmac_f32_e32 v57, v65, v16
	v_fmac_f32_e32 v61, v7, v16
	ds_read2_b32 v[6:7], v1 offset0:80 offset1:192
	ds_read_b32 v65, v18
	ds_read_b32 v13, v54 offset:7616
	v_mul_f32_e32 v59, v59, v15
	v_fmac_f32_e32 v59, v67, v14
	s_waitcnt lgkmcnt(3)
	v_mul_f32_e32 v12, v11, v15
	v_mul_f32_e32 v67, v70, v15
	v_fma_f32 v66, v70, v14, -v12
	v_fmac_f32_e32 v67, v11, v14
	s_waitcnt lgkmcnt(2)
	v_mul_f32_e32 v11, v7, v17
	v_mul_f32_e32 v12, v51, v17
	v_fma_f32 v11, v51, v16, -v11
	v_fmac_f32_e32 v12, v7, v16
	s_waitcnt vmcnt(0)
	v_mul_f32_e32 v7, v6, v47
	v_mul_f32_e32 v47, v50, v47
	v_fma_f32 v51, v50, v46, -v7
	v_fmac_f32_e32 v47, v6, v46
	ds_read_b32 v46, v54 offset:448
	s_waitcnt lgkmcnt(1)
	v_mul_f32_e32 v6, v13, v49
	v_add_f32_e32 v7, v8, v11
	v_lshrrev_b32_e32 v14, 5, v52
	v_fma_f32 v50, v31, v48, -v6
	v_mul_f32_e32 v31, v31, v49
	v_add_f32_e32 v6, v19, v8
	v_fmac_f32_e32 v19, -0.5, v7
	v_mul_u32_u24_e32 v14, 0x60, v14
	v_fmac_f32_e32 v31, v13, v48
	v_sub_f32_e32 v7, v10, v12
	v_mov_b32_e32 v13, v19
	ds_read_b32 v48, v22
	ds_read_b32 v49, v26
	;; [unrolled: 1-line block ×4, first 2 shown]
	v_or_b32_e32 v14, v14, v29
	v_add_f32_e32 v6, v6, v11
	v_fmac_f32_e32 v13, 0x3f5db3d7, v7
	v_lshl_add_u32 v70, v14, 2, v0
	s_waitcnt lgkmcnt(0)
	s_barrier
	ds_write2_b32 v70, v6, v13 offset1:32
	v_add_f32_e32 v6, v48, v10
	v_fmac_f32_e32 v19, 0xbf5db3d7, v7
	v_add_f32_e32 v72, v6, v12
	v_add_f32_e32 v6, v10, v12
	;; [unrolled: 1-line block ×3, first 2 shown]
	v_fmac_f32_e32 v48, -0.5, v6
	v_add_f32_e32 v6, v35, v37
	v_fmac_f32_e32 v35, -0.5, v7
	v_sub_f32_e32 v73, v8, v11
	v_sub_f32_e32 v7, v43, v9
	v_mov_b32_e32 v8, v35
	v_fmac_f32_e32 v8, 0x3f5db3d7, v7
	v_fmac_f32_e32 v35, 0xbf5db3d7, v7
	v_lshrrev_b32_e32 v7, 5, v53
	v_mul_u32_u24_e32 v7, 0x60, v7
	v_or_b32_e32 v7, v7, v21
	ds_write_b32 v70, v19 offset:256
	v_add_f32_e32 v6, v6, v45
	v_lshl_add_u32 v19, v7, 2, v0
	v_add_f32_e32 v7, v66, v42
	ds_write2_b32 v19, v6, v8 offset1:32
	v_add_f32_e32 v6, v39, v66
	v_fmac_f32_e32 v39, -0.5, v7
	v_sub_f32_e32 v7, v67, v57
	v_mov_b32_e32 v8, v39
	v_fmac_f32_e32 v8, 0x3f5db3d7, v7
	v_fmac_f32_e32 v39, 0xbf5db3d7, v7
	v_lshrrev_b32_e32 v7, 5, v24
	v_mul_lo_u32 v7, v7, s0
	v_or_b32_e32 v7, v7, v29
	v_add_f32_e32 v6, v6, v42
	v_lshl_add_u32 v21, v7, 2, v0
	v_add_f32_e32 v7, v56, v63
	ds_write_b32 v19, v35 offset:256
	ds_write2_b32 v21, v6, v8 offset1:32
	v_add_f32_e32 v6, v23, v56
	v_fmac_f32_e32 v23, -0.5, v7
	v_sub_f32_e32 v7, v58, v60
	v_mov_b32_e32 v8, v23
	v_add_f32_e32 v10, v62, v64
	v_fmac_f32_e32 v8, 0x3f5db3d7, v7
	v_fmac_f32_e32 v23, 0xbf5db3d7, v7
	v_add_f32_e32 v7, v27, v62
	v_fmac_f32_e32 v27, -0.5, v10
	v_lshrrev_b32_e32 v10, 5, v38
	v_mul_lo_u32 v10, v10, s0
	v_or_b32_e32 v10, v10, v25
	v_add_f32_e32 v6, v6, v63
	v_lshl_add_u32 v35, v10, 2, v0
	ds_write_b32 v21, v39 offset:256
	ds_write2_b32 v35, v6, v8 offset1:32
	v_sub_f32_e32 v6, v59, v61
	v_mov_b32_e32 v8, v27
	v_add_f32_e32 v10, v51, v50
	v_fmac_f32_e32 v8, 0x3f5db3d7, v6
	v_fmac_f32_e32 v27, 0xbf5db3d7, v6
	v_add_f32_e32 v6, v71, v51
	v_fmac_f32_e32 v71, -0.5, v10
	v_lshrrev_b32_e32 v10, 5, v36
	v_mul_lo_u32 v10, v10, s0
	v_or_b32_e32 v10, v10, v29
	v_add_f32_e32 v7, v7, v64
	v_lshl_add_u32 v39, v10, 2, v0
	ds_write_b32 v35, v23 offset:256
	ds_write2_b32 v39, v7, v8 offset1:32
	v_sub_f32_e32 v7, v47, v31
	v_mov_b32_e32 v8, v71
	v_fmac_f32_e32 v8, 0x3f5db3d7, v7
	v_fmac_f32_e32 v71, 0xbf5db3d7, v7
	v_lshrrev_b32_e32 v7, 5, v30
	v_mul_lo_u32 v7, v7, s0
	v_mov_b32_e32 v29, v48
	v_or_b32_e32 v7, v7, v33
	v_fmac_f32_e32 v29, 0xbf5db3d7, v73
	v_add_f32_e32 v6, v6, v50
	ds_write_b32 v39, v27 offset:256
	v_lshl_add_u32 v27, v7, 2, v0
	ds_write2_b32 v27, v6, v8 offset1:32
	ds_write_b32 v27, v71 offset:256
	s_waitcnt lgkmcnt(0)
	s_barrier
	ds_read2_b32 v[10:11], v20 offset0:32 offset1:144
	ds_read2_b32 v[6:7], v1 offset0:80 offset1:192
	;; [unrolled: 1-line block ×5, first 2 shown]
	ds_read_b32 v33, v22
	ds_read_b32 v23, v26
	;; [unrolled: 1-line block ×3, first 2 shown]
	ds_read_b32 v80, v54 offset:7616
	ds_read_b32 v81, v54 offset:448
	ds_read_b32 v25, v55
	ds_read_b32 v82, v32
	;; [unrolled: 1-line block ×3, first 2 shown]
	s_waitcnt lgkmcnt(0)
	s_barrier
	ds_write2_b32 v70, v72, v29 offset1:32
	v_add_f32_e32 v29, v46, v43
	v_add_f32_e32 v29, v29, v9
	;; [unrolled: 1-line block ×3, first 2 shown]
	v_fmac_f32_e32 v46, -0.5, v9
	v_sub_f32_e32 v9, v37, v45
	v_mov_b32_e32 v37, v46
	v_add_f32_e32 v43, v67, v57
	v_fmac_f32_e32 v37, 0xbf5db3d7, v9
	v_fmac_f32_e32 v46, 0x3f5db3d7, v9
	v_add_f32_e32 v9, v69, v67
	v_fmac_f32_e32 v69, -0.5, v43
	v_sub_f32_e32 v42, v66, v42
	v_mov_b32_e32 v43, v69
	v_add_f32_e32 v45, v58, v60
	v_fmac_f32_e32 v48, 0x3f5db3d7, v73
	v_fmac_f32_e32 v43, 0xbf5db3d7, v42
	;; [unrolled: 1-line block ×3, first 2 shown]
	v_add_f32_e32 v42, v49, v58
	v_fmac_f32_e32 v49, -0.5, v45
	ds_write_b32 v70, v48 offset:256
	v_sub_f32_e32 v45, v56, v63
	v_mov_b32_e32 v48, v49
	v_add_f32_e32 v56, v59, v61
	v_fmac_f32_e32 v48, 0xbf5db3d7, v45
	v_fmac_f32_e32 v49, 0x3f5db3d7, v45
	v_add_f32_e32 v45, v68, v59
	v_fmac_f32_e32 v68, -0.5, v56
	v_add_f32_e32 v9, v9, v57
	v_sub_f32_e32 v56, v62, v64
	v_mov_b32_e32 v57, v68
	v_fmac_f32_e32 v57, 0xbf5db3d7, v56
	v_fmac_f32_e32 v68, 0x3f5db3d7, v56
	v_add_f32_e32 v56, v65, v47
	v_add_f32_e32 v56, v56, v31
	;; [unrolled: 1-line block ×3, first 2 shown]
	v_fmac_f32_e32 v65, -0.5, v31
	v_sub_f32_e32 v31, v51, v50
	v_mov_b32_e32 v47, v65
	v_add_f32_e32 v42, v42, v60
	v_add_f32_e32 v45, v45, v61
	v_fmac_f32_e32 v47, 0xbf5db3d7, v31
	v_fmac_f32_e32 v65, 0x3f5db3d7, v31
	ds_write2_b32 v19, v29, v37 offset1:32
	ds_write_b32 v19, v46 offset:256
	ds_write2_b32 v21, v9, v43 offset1:32
	ds_write_b32 v21, v69 offset:256
	;; [unrolled: 2-line block ×5, first 2 shown]
	v_mul_u32_u24_sdwa v9, v38, s2 dst_sel:DWORD dst_unused:UNUSED_PAD src0_sel:WORD_0 src1_sel:DWORD
	v_lshrrev_b32_e32 v27, 22, v9
	v_mul_lo_u16_e32 v9, 0x60, v27
	v_sub_u16_e32 v29, v38, v9
	v_lshlrev_b32_e32 v9, 4, v29
	s_waitcnt lgkmcnt(0)
	s_barrier
	global_load_dwordx4 v[46:49], v9, s[8:9] offset:752
	v_mul_u32_u24_sdwa v9, v36, s2 dst_sel:DWORD dst_unused:UNUSED_PAD src0_sel:WORD_0 src1_sel:DWORD
	v_lshrrev_b32_e32 v31, 22, v9
	v_mul_lo_u16_e32 v9, 0x60, v31
	v_sub_u16_e32 v35, v36, v9
	v_lshlrev_b32_e32 v9, 4, v35
	global_load_dwordx4 v[56:59], v9, s[8:9] offset:752
	v_mul_u32_u24_sdwa v9, v24, s2 dst_sel:DWORD dst_unused:UNUSED_PAD src0_sel:WORD_0 src1_sel:DWORD
	ds_read2_b32 v[36:37], v40 offset0:112 offset1:224
	ds_read2_b32 v[50:51], v41 offset0:16 offset1:128
	v_lshrrev_b32_e32 v40, 22, v9
	v_mul_lo_u16_e32 v9, 0x60, v40
	v_sub_u16_e32 v83, v24, v9
	v_lshlrev_b32_e32 v9, 4, v83
	global_load_dwordx4 v[60:63], v9, s[8:9] offset:752
	s_waitcnt vmcnt(2) lgkmcnt(1)
	v_mul_f32_e32 v9, v36, v47
	v_fma_f32 v38, v16, v46, -v9
	s_waitcnt lgkmcnt(0)
	v_mul_f32_e32 v9, v50, v49
	v_mul_f32_e32 v39, v16, v47
	v_fma_f32 v41, v14, v48, -v9
	v_mul_lo_u16_sdwa v9, v53, s1 dst_sel:DWORD dst_unused:UNUSED_PAD src0_sel:BYTE_0 src1_sel:DWORD
	v_fmac_f32_e32 v39, v36, v46
	v_lshrrev_b16_e32 v36, 14, v9
	v_mul_lo_u16_e32 v9, 0x60, v36
	v_sub_u16_e32 v65, v53, v9
	v_mov_b32_e32 v9, 4
	v_lshlrev_b32_sdwa v9, v9, v65 dst_sel:DWORD dst_unused:UNUSED_PAD src0_sel:DWORD src1_sel:BYTE_0
	global_load_dwordx4 v[66:69], v9, s[8:9] offset:752
	v_add_u32_e32 v9, 0xffffffa0, v52
	v_cmp_gt_u32_e64 s[0:1], s0, v52
	v_cndmask_b32_e64 v9, v9, v52, s[0:1]
	v_lshlrev_b32_e32 v78, 1, v9
	v_lshlrev_b64 v[42:43], 3, v[78:79]
	v_mov_b32_e32 v16, s9
	v_add_co_u32_e64 v42, s[0:1], s8, v42
	v_addc_co_u32_e64 v43, s[0:1], v16, v43, s[0:1]
	global_load_dwordx4 v[70:73], v[42:43], off offset:752
	v_mul_f32_e32 v42, v14, v49
	v_mul_u32_u24_sdwa v14, v30, s2 dst_sel:DWORD dst_unused:UNUSED_PAD src0_sel:WORD_0 src1_sel:DWORD
	v_lshrrev_b32_e32 v78, 22, v14
	v_mul_lo_u16_e32 v14, 0x60, v78
	v_sub_u16_e32 v30, v30, v14
	v_lshlrev_b32_e32 v14, 4, v30
	global_load_dwordx4 v[74:77], v14, s[8:9] offset:752
	s_waitcnt vmcnt(4)
	v_mul_f32_e32 v14, v37, v57
	v_fma_f32 v43, v17, v56, -v14
	v_mul_f32_e32 v14, v51, v59
	ds_read_b32 v16, v32
	v_fma_f32 v46, v15, v58, -v14
	v_mul_f32_e32 v47, v15, v59
	ds_read2_b32 v[14:15], v34 offset0:48 offset1:160
	ds_read_b32 v21, v18
	v_fmac_f32_e32 v42, v50, v48
	s_waitcnt vmcnt(3)
	v_mul_f32_e32 v50, v82, v61
	v_mul_f32_e32 v45, v17, v57
	s_waitcnt lgkmcnt(2)
	v_mul_f32_e32 v17, v16, v61
	v_fmac_f32_e32 v50, v16, v60
	s_waitcnt lgkmcnt(1)
	v_mul_f32_e32 v16, v15, v63
	v_fmac_f32_e32 v47, v51, v58
	v_fma_f32 v49, v82, v60, -v17
	v_fma_f32 v51, v13, v62, -v16
	ds_read2_b32 v[16:17], v20 offset0:32 offset1:144
	v_mul_f32_e32 v57, v13, v63
	v_fmac_f32_e32 v57, v15, v62
	ds_read_b32 v48, v54 offset:448
	s_movk_i32 s0, 0x5f
	v_cmp_lt_u32_e64 s[0:1], s0, v52
	v_fmac_f32_e32 v45, v37, v56
	v_cmp_lt_u32_e64 s[2:3], 63, v52
	s_waitcnt vmcnt(2)
	v_mul_f32_e32 v13, v14, v69
	v_fma_f32 v60, v12, v68, -v13
	v_mul_f32_e32 v63, v12, v69
	s_waitcnt lgkmcnt(1)
	v_mul_f32_e32 v12, v17, v67
	v_fma_f32 v62, v11, v66, -v12
	ds_read2_b32 v[12:13], v1 offset0:80 offset1:192
	v_mul_f32_e32 v64, v11, v67
	v_fmac_f32_e32 v64, v17, v66
	v_fmac_f32_e32 v63, v14, v68
	s_waitcnt vmcnt(1)
	v_mul_f32_e32 v1, v16, v71
	v_fma_f32 v66, v10, v70, -v1
	s_waitcnt lgkmcnt(0)
	v_mul_f32_e32 v1, v13, v73
	v_fma_f32 v68, v7, v72, -v1
	ds_read_b32 v1, v54 offset:7616
	v_mul_f32_e32 v69, v7, v73
	v_mul_f32_e32 v67, v10, v71
	s_waitcnt vmcnt(0)
	v_mul_f32_e32 v11, v6, v75
	v_mul_f32_e32 v7, v80, v77
	;; [unrolled: 1-line block ×3, first 2 shown]
	v_fmac_f32_e32 v11, v12, v74
	v_mul_f32_e32 v6, v12, v75
	s_waitcnt lgkmcnt(0)
	v_fmac_f32_e32 v7, v1, v76
	v_mul_f32_e32 v1, v1, v77
	v_fmac_f32_e32 v67, v16, v70
	v_fma_f32 v16, v80, v76, -v1
	v_pk_add_f32 v[18:19], v[10:11], v[6:7] neg_lo:[0,1] neg_hi:[0,1]
	v_mov_b32_e32 v1, 0x3f5db3d7
	v_add_f32_e32 v6, v18, v16
	v_fmac_f32_e32 v69, v13, v72
	v_pk_add_f32 v[14:15], v[0:1], v[18:19]
	v_pk_mul_f32 v[12:13], v[0:1], v[18:19]
	v_fmac_f32_e32 v0, -0.5, v6
	v_add_f32_e32 v1, v66, v68
	v_add_f32_e32 v10, v13, v0
	v_mov_b32_e32 v17, v0
	v_add_f32_e32 v0, v33, v66
	v_fmac_f32_e32 v33, -0.5, v1
	v_mov_b32_e32 v1, 0x480
	v_cndmask_b32_e64 v1, 0, v1, s[0:1]
	v_add_u32_e32 v1, 0, v1
	v_lshlrev_b32_e32 v6, 2, v9
	v_add3_u32 v6, v1, v6, v44
	v_sub_f32_e32 v1, v67, v69
	v_mov_b32_e32 v12, v33
	v_add_f32_e32 v0, v0, v68
	v_fmac_f32_e32 v12, 0x3f5db3d7, v1
	v_fmac_f32_e32 v33, 0xbf5db3d7, v1
	v_add_f32_e32 v1, v62, v60
	ds_read_b32 v9, v28
	ds_read_b32 v58, v26
	;; [unrolled: 1-line block ×4, first 2 shown]
	s_waitcnt lgkmcnt(0)
	s_barrier
	ds_write2_b32 v6, v0, v12 offset1:96
	v_add_f32_e32 v0, v81, v62
	v_fmac_f32_e32 v81, -0.5, v1
	v_mov_b32_e32 v1, 2
	s_movk_i32 s0, 0x480
	v_lshlrev_b32_sdwa v1, v1, v65 dst_sel:DWORD dst_unused:UNUSED_PAD src0_sel:DWORD src1_sel:BYTE_0
	v_mad_u32_u24 v12, v36, s0, 0
	v_add3_u32 v65, v12, v1, v44
	v_sub_f32_e32 v1, v64, v63
	v_mov_b32_e32 v12, v81
	v_add_f32_e32 v0, v0, v60
	v_fmac_f32_e32 v12, 0x3f5db3d7, v1
	v_fmac_f32_e32 v81, 0xbf5db3d7, v1
	v_add_f32_e32 v1, v49, v51
	s_mov_b32 s1, 0x5040100
	ds_write_b32 v6, v33 offset:768
	ds_write2_b32 v65, v0, v12 offset1:96
	v_add_f32_e32 v0, v25, v49
	v_fmac_f32_e32 v25, -0.5, v1
	v_perm_b32 v1, v27, v40, s1
	v_pk_mul_lo_u16 v1, v1, s0 op_sel_hi:[1,0]
	v_and_b32_e32 v12, 0xff80, v1
	v_mov_b32_e32 v15, v13
	v_add_u32_e32 v12, 0, v12
	v_lshlrev_b32_e32 v13, 2, v83
	v_add3_u32 v70, v12, v13, v44
	v_sub_f32_e32 v12, v50, v57
	v_mov_b32_e32 v13, v25
	v_add_f32_e32 v0, v0, v51
	v_fmac_f32_e32 v13, 0x3f5db3d7, v12
	v_fmac_f32_e32 v25, 0xbf5db3d7, v12
	v_add_f32_e32 v12, v38, v41
	ds_write_b32 v65, v81 offset:768
	ds_write2_b32 v70, v0, v13 offset1:96
	v_add_f32_e32 v0, v23, v38
	v_fmac_f32_e32 v23, -0.5, v12
	v_add_u32_sdwa v1, v79, v1 dst_sel:DWORD dst_unused:UNUSED_PAD src0_sel:DWORD src1_sel:WORD_1
	v_lshlrev_b32_e32 v12, 2, v29
	v_add3_u32 v71, v1, v12, v44
	v_sub_f32_e32 v1, v39, v42
	v_mov_b32_e32 v12, v23
	v_add_f32_e32 v0, v0, v41
	v_fmac_f32_e32 v12, 0x3f5db3d7, v1
	v_fmac_f32_e32 v23, 0xbf5db3d7, v1
	v_add_f32_e32 v1, v43, v46
	ds_write_b32 v70, v25 offset:768
	ds_write2_b32 v71, v0, v12 offset1:96
	v_add_f32_e32 v0, v8, v43
	v_fmac_f32_e32 v8, -0.5, v1
	v_sub_f32_e32 v1, v45, v47
	v_mov_b32_e32 v12, v8
	v_fmac_f32_e32 v12, 0x3f5db3d7, v1
	v_fmac_f32_e32 v8, 0xbf5db3d7, v1
	v_perm_b32 v1, v78, v31, s1
	v_pk_mul_lo_u16 v19, v1, s0 op_sel_hi:[1,0]
	v_and_b32_e32 v1, 0xff80, v19
	v_add_u32_e32 v1, 0, v1
	v_lshlrev_b32_e32 v13, 2, v35
	ds_write_b32 v71, v23 offset:768
	v_add_f32_e32 v0, v0, v46
	v_add3_u32 v23, v1, v13, v44
	ds_write2_b32 v23, v0, v12 offset1:96
	v_pk_add_f32 v[12:13], v[16:17], v[14:15]
	v_pk_add_f32 v[0:1], v[16:17], v[14:15] neg_lo:[0,1] neg_hi:[0,1]
	v_add_u32_sdwa v0, v79, v19 dst_sel:DWORD dst_unused:UNUSED_PAD src0_sel:DWORD src1_sel:WORD_1
	v_lshlrev_b32_e32 v13, 2, v30
	v_add3_u32 v0, v0, v13, v44
	v_add_u32_e32 v13, 0x100, v54
	ds_write_b32 v23, v8 offset:768
	ds_write2_b32 v0, v12, v10 offset1:96
	ds_write_b32 v0, v1 offset:768
	s_waitcnt lgkmcnt(0)
	s_barrier
	ds_read2_b32 v[26:27], v13 offset0:48 offset1:224
	v_add_u32_e32 v13, 0x600, v54
	ds_read2_b32 v[28:29], v13 offset0:16 offset1:192
	ds_read2_b32 v[32:33], v20 offset0:48 offset1:224
	v_add_u32_e32 v13, 0xf00, v54
	ds_read2_b32 v[34:35], v13 offset0:16 offset1:192
	v_add_u32_e32 v13, 0x1300, v54
	ds_read2_b32 v[30:31], v13 offset0:48 offset1:224
	v_add_u32_e32 v13, 0x1800, v54
	ds_read2_b32 v[36:37], v13 offset0:16 offset1:192
	ds_read_b32 v56, v54 offset:7360
	ds_read_b32 v40, v22
	v_cmp_gt_u32_e64 s[0:1], 64, v52
	s_and_saveexec_b64 s[6:7], s[2:3]
	s_xor_b64 s[6:7], exec, s[6:7]
; %bb.14:
	v_mov_b32_e32 v13, v1
; %bb.15:
	s_or_saveexec_b64 s[6:7], s[6:7]
                                        ; implicit-def: $vgpr17
                                        ; implicit-def: $vgpr14
	s_xor_b64 exec, exec, s[6:7]
	s_cbranch_execz .LBB0_17
; %bb.16:
	ds_read_b32 v8, v55
	ds_read_b32 v12, v54 offset:2048
	ds_read_b32 v10, v54 offset:3200
	;; [unrolled: 1-line block ×6, first 2 shown]
.LBB0_17:
	s_or_b64 exec, exec, s[6:7]
	v_add_f32_e32 v19, v67, v69
	v_add_f32_e32 v1, v61, v67
	v_fmac_f32_e32 v61, -0.5, v19
	v_sub_f32_e32 v19, v66, v68
	v_mov_b32_e32 v25, v61
	v_fmac_f32_e32 v25, 0xbf5db3d7, v19
	v_fmac_f32_e32 v61, 0x3f5db3d7, v19
	v_add_f32_e32 v19, v48, v64
	v_add_f32_e32 v44, v19, v63
	v_add_f32_e32 v19, v64, v63
	v_fmac_f32_e32 v48, -0.5, v19
	v_sub_f32_e32 v19, v62, v60
	v_mov_b32_e32 v60, v48
	v_fmac_f32_e32 v60, 0xbf5db3d7, v19
	v_fmac_f32_e32 v48, 0x3f5db3d7, v19
	v_add_f32_e32 v19, v59, v50
	;; [unrolled: 8-line block ×4, first 2 shown]
	v_add_f32_e32 v42, v19, v47
	v_add_f32_e32 v19, v45, v47
	v_fmac_f32_e32 v9, -0.5, v19
	v_add_f32_e32 v20, v21, v11
	v_add_f32_e32 v11, v11, v7
	v_sub_f32_e32 v19, v43, v46
	v_mov_b32_e32 v43, v9
	v_fmac_f32_e32 v21, -0.5, v11
	v_sub_f32_e32 v11, v18, v16
	v_add_f32_e32 v1, v1, v69
	v_fmac_f32_e32 v43, 0xbf5db3d7, v19
	v_fmac_f32_e32 v9, 0x3f5db3d7, v19
	v_mul_f32_e32 v39, 0x3f5db3d7, v11
	v_mov_b32_e32 v19, v21
	v_mov_b32_e32 v38, v7
	v_fmac_f32_e32 v19, 0xbf5db3d7, v11
	v_pk_add_f32 v[20:21], v[20:21], v[38:39]
	s_waitcnt lgkmcnt(0)
	s_barrier
	ds_write2_b32 v6, v1, v25 offset1:96
	ds_write_b32 v6, v61 offset:768
	ds_write2_b32 v65, v44, v60 offset1:96
	ds_write_b32 v65, v48 offset:768
	;; [unrolled: 2-line block ×6, first 2 shown]
	v_add_u32_e32 v0, 0x100, v54
	s_waitcnt lgkmcnt(0)
	s_barrier
	ds_read2_b32 v[38:39], v0 offset0:48 offset1:224
	v_add_u32_e32 v0, 0x600, v54
	ds_read2_b32 v[42:43], v0 offset0:16 offset1:192
	v_add_u32_e32 v0, 0xa00, v54
	;; [unrolled: 2-line block ×5, first 2 shown]
	ds_read2_b32 v[50:51], v0 offset0:16 offset1:192
	ds_read_b32 v41, v22
	ds_read_b32 v11, v54 offset:7360
	s_and_saveexec_b64 s[6:7], s[2:3]
	s_xor_b64 s[2:3], exec, s[6:7]
                                        ; implicit-def: $vgpr23
; %bb.18:
                                        ; implicit-def: $vgpr55
                                        ; implicit-def: $vgpr54
; %bb.19:
	s_or_saveexec_b64 s[2:3], s[2:3]
                                        ; implicit-def: $vgpr25
                                        ; implicit-def: $vgpr22
	s_xor_b64 exec, exec, s[2:3]
	s_cbranch_execz .LBB0_21
; %bb.20:
	ds_read_b32 v9, v55
	ds_read_b32 v20, v54 offset:2048
	ds_read_b32 v19, v54 offset:3200
	ds_read_b32 v21, v54 offset:4352
	ds_read_b32 v23, v54 offset:5504
	ds_read_b32 v25, v54 offset:6656
	ds_read_b32 v22, v54 offset:7808
	s_or_b64 exec, exec, s[2:3]
	s_and_saveexec_b64 s[2:3], vcc
	s_cbranch_execz .LBB0_24
	s_branch .LBB0_22
.LBB0_21:
	s_or_b64 exec, exec, s[2:3]
	s_and_saveexec_b64 s[2:3], vcc
	s_cbranch_execz .LBB0_24
.LBB0_22:
	v_mul_u32_u24_e32 v0, 6, v52
	v_lshlrev_b32_e32 v0, 3, v0
	global_load_dwordx4 v[58:61], v0, s[8:9] offset:2320
	global_load_dwordx4 v[62:65], v0, s[8:9] offset:2288
	;; [unrolled: 1-line block ×3, first 2 shown]
	v_mul_u32_u24_e32 v0, 6, v53
	v_mul_lo_u32 v1, s5, v4
	v_mul_lo_u32 v53, s4, v5
	v_mad_u64_u32 v[54:55], s[2:3], s4, v4, 0
	s_mov_b32 s3, 0x38e38e39
	s_waitcnt lgkmcnt(3)
	v_mov_b32_e32 v4, v45
	v_mov_b32_e32 v5, v49
	;; [unrolled: 1-line block ×3, first 2 shown]
	v_add3_u32 v55, v55, v53, v1
	v_mov_b32_e32 v18, v29
	v_mov_b32_e32 v74, v29
	v_lshlrev_b64 v[54:55], 3, v[54:55]
	v_mov_b32_e32 v57, s15
	v_lshlrev_b64 v[70:71], 3, v[2:3]
	v_mov_b32_e32 v16, v31
	v_mov_b32_e32 v72, v31
	;; [unrolled: 1-line block ×5, first 2 shown]
	s_mov_b32 s4, 0xbf08b237
	s_mov_b32 s5, 0x3eae86e6
	;; [unrolled: 1-line block ×10, first 2 shown]
	v_lshlrev_b32_e32 v94, 3, v0
	global_load_dwordx4 v[0:3], v94, s[8:9] offset:2320
	s_mov_b32 s16, 0x3f5ff5aa
	s_waitcnt vmcnt(3) lgkmcnt(2)
	v_mul_f32_e32 v53, v51, v61
	s_waitcnt vmcnt(2)
	v_mul_f32_e32 v43, v43, v65
	v_mul_f32_e32 v45, v45, v59
	;; [unrolled: 1-line block ×3, first 2 shown]
	v_mov_b32_e32 v82, v59
	v_mov_b32_e32 v84, v59
	s_waitcnt vmcnt(1)
	v_mov_b32_e32 v59, v67
	v_fma_f32 v80, v37, v60, -v53
	v_fma_f32 v78, v31, v58, -v45
	v_fmac_f32_e32 v76, v51, v60
	v_pk_mul_f32 v[58:59], v[4:5], v[58:59]
	v_mul_f32_e32 v4, v39, v63
	v_fma_f32 v60, v29, v64, -v43
	v_mul_hi_u32 v29, v52, s3
	v_mul_f32_e32 v61, v49, v66
	v_mul_f32_e32 v81, v35, v69
	v_mov_b32_e32 v85, v66
	v_mov_b32_e32 v66, v65
	;; [unrolled: 1-line block ×5, first 2 shown]
	v_mul_f32_e32 v69, v47, v68
	v_fma_f32 v68, v27, v62, -v4
	v_mul_f32_e32 v88, v27, v63
	v_add_co_u32_e32 v27, vcc, s14, v54
	v_lshrrev_b32_e32 v29, 6, v29
	v_addc_co_u32_e32 v31, vcc, v57, v55, vcc
	v_mul_u32_u24_e32 v29, 0x120, v29
	v_mul_f32_e32 v79, v33, v67
	v_fmac_f32_e32 v88, v39, v62
	v_pk_mul_f32 v[62:63], v[6:7], v[64:65]
	v_sub_u32_e32 v33, v52, v29
	v_add_co_u32_e32 v29, vcc, v27, v70
	v_addc_co_u32_e32 v39, vcc, v31, v71, vcc
	v_sub_f32_e32 v77, v60, v78
	v_pk_add_f32 v[70:71], v[60:61], v[78:79]
	v_pk_fma_f32 v[60:61], v[16:17], v[82:83], v[58:59]
	v_pk_fma_f32 v[58:59], v[72:73], v[84:85], v[58:59] neg_lo:[0,0,1] neg_hi:[0,0,1]
	v_pk_fma_f32 v[66:67], v[18:19], v[66:67], v[62:63]
	v_pk_fma_f32 v[62:63], v[74:75], v[86:87], v[62:63] neg_lo:[0,0,1] neg_hi:[0,0,1]
	v_mov_b32_e32 v61, v59
	v_mov_b32_e32 v67, v63
	v_pk_add_f32 v[74:75], v[66:67], v[60:61]
	v_pk_add_f32 v[66:67], v[66:67], v[60:61] neg_lo:[0,1] neg_hi:[0,1]
	v_mov_b32_e32 v89, v67
	v_pk_add_f32 v[78:79], v[68:69], v[80:81]
	v_pk_add_f32 v[60:61], v[66:67], v[76:77]
	v_pk_add_f32 v[82:83], v[88:89], v[76:77] neg_lo:[0,1] neg_hi:[0,1]
	v_mov_b32_e32 v69, v68
	v_mov_b32_e32 v68, v79
	;; [unrolled: 1-line block ×5, first 2 shown]
	v_pk_add_f32 v[68:69], v[68:69], v[60:61] neg_lo:[0,1] neg_hi:[0,1]
	v_pk_add_f32 v[60:61], v[68:69], v[66:67]
	v_mov_b32_e32 v61, v69
	v_add_f32_e32 v65, v88, v76
	v_pk_add_f32 v[84:85], v[60:61], v[82:83]
	v_mov_b32_e32 v83, v67
	v_mov_b32_e32 v76, v68
	;; [unrolled: 1-line block ×5, first 2 shown]
	v_pk_add_f32 v[72:73], v[78:79], v[70:71]
	v_pk_add_f32 v[60:61], v[82:83], v[76:77] neg_lo:[0,1] neg_hi:[0,1]
	v_pk_add_f32 v[58:59], v[64:65], v[58:59]
	v_pk_mul_f32 v[86:87], v[60:61], s[6:7]
	v_pk_add_f32 v[60:61], v[72:73], v[58:59]
	v_mov_b32_e32 v79, v73
	v_mov_b32_e32 v59, v74
	v_pk_add_f32 v[62:63], v[78:79], v[58:59] neg_lo:[0,1] neg_hi:[0,1]
	v_mov_b32_e32 v59, v65
	v_mov_b32_e32 v71, v73
	v_pk_add_f32 v[80:81], v[68:69], v[66:67] neg_lo:[0,1] neg_hi:[0,1]
	s_waitcnt lgkmcnt(1)
	v_pk_add_f32 v[40:41], v[40:41], v[60:61]
	v_pk_mul_f32 v[62:63], v[62:63], s[10:11]
	v_pk_add_f32 v[72:73], v[58:59], v[70:71] neg_lo:[0,1] neg_hi:[0,1]
	v_pk_fma_f32 v[58:59], v[72:73], s[12:13], v[62:63]
	v_pk_fma_f32 v[88:89], v[60:61], s[18:19], v[40:41] op_sel_hi:[1,0,1] neg_lo:[1,0,0] neg_hi:[1,0,0]
	v_pk_fma_f32 v[60:61], v[80:81], s[4:5], v[86:87]
	v_pk_add_f32 v[58:59], v[58:59], v[88:89]
	v_pk_fma_f32 v[60:61], v[84:85], s[2:3], v[60:61] op_sel_hi:[1,0,1]
	global_load_dwordx4 v[4:7], v94, s[8:9] offset:2288
	v_pk_add_f32 v[90:91], v[58:59], v[60:61]
	v_pk_add_f32 v[92:93], v[58:59], v[60:61] neg_lo:[0,1] neg_hi:[0,1]
	global_load_dwordx4 v[58:61], v94, s[8:9] offset:2304
	v_lshlrev_b32_e32 v27, 3, v33
	v_add_co_u32_e32 v54, vcc, v29, v27
	v_addc_co_u32_e32 v55, vcc, 0, v39, vcc
	global_store_dwordx2 v[54:55], v[40:41], off
	v_mov_b32_e32 v40, v90
	v_mov_b32_e32 v41, v93
	global_store_dwordx2 v[54:55], v[40:41], off offset:2304
	v_mov_b32_e32 v71, v74
	v_mov_b32_e32 v79, v65
	v_pk_mul_f32 v[40:41], v[80:81], s[4:5]
	v_pk_mul_f32 v[64:65], v[72:73], s[12:13]
	v_mov_b32_e32 v67, v77
	v_mov_b32_e32 v83, v69
	v_pk_add_f32 v[70:71], v[70:71], v[78:79] neg_lo:[0,1] neg_hi:[0,1]
	s_mov_b32 s14, 0x3f3bfb3b
	v_pk_add_f32 v[66:67], v[66:67], v[82:83] neg_lo:[0,1] neg_hi:[0,1]
	v_mov_b32_e32 v68, v62
	v_mov_b32_e32 v69, v65
	;; [unrolled: 1-line block ×4, first 2 shown]
	v_pk_fma_f32 v[68:69], v[70:71], s[14:15], v[68:69] op_sel_hi:[1,0,1] neg_lo:[1,0,1] neg_hi:[1,0,1]
	v_pk_fma_f32 v[72:73], v[66:67], s[16:17], v[72:73] op_sel_hi:[1,0,1] neg_lo:[1,0,1] neg_hi:[1,0,1]
	v_mov_b32_e32 v41, v87
	v_pk_add_f32 v[68:69], v[68:69], v[88:89]
	v_pk_fma_f32 v[72:73], v[84:85], s[2:3], v[72:73] op_sel_hi:[1,0,1]
	s_movk_i32 s15, 0x1000
	v_pk_fma_f32 v[40:41], v[66:67], s[16:17], v[40:41] op_sel_hi:[1,0,1] neg_lo:[0,0,1] neg_hi:[0,0,1]
	v_pk_add_f32 v[74:75], v[68:69], v[72:73]
	v_pk_add_f32 v[68:69], v[68:69], v[72:73] neg_lo:[0,1] neg_hi:[0,1]
	v_add_co_u32_e32 v76, vcc, s15, v54
	s_waitcnt vmcnt(4)
	v_mul_f32_e32 v62, v36, v1
	v_pk_fma_f32 v[78:79], v[84:85], s[2:3], v[40:41] op_sel_hi:[1,0,1]
	v_mov_b32_e32 v51, v46
	v_mov_b32_e32 v84, v1
	;; [unrolled: 1-line block ×4, first 2 shown]
	v_addc_co_u32_e32 v77, vcc, 0, v55, vcc
	v_fmac_f32_e32 v62, v50, v0
	v_mov_b32_e32 v37, v34
	v_mov_b32_e32 v82, v0
	global_store_dwordx2 v[76:77], v[72:73], off offset:512
	s_movk_i32 s15, 0x120
	v_mov_b32_e32 v65, v63
	v_mov_b32_e32 v49, v44
	v_pk_fma_f32 v[64:65], v[70:71], s[14:15], v[64:65] op_sel_hi:[1,0,1] neg_lo:[0,0,1] neg_hi:[0,0,1]
	v_mov_b32_e32 v33, v30
	s_waitcnt lgkmcnt(0)
	v_mov_b32_e32 v47, v11
	v_pk_add_f32 v[64:65], v[64:65], v[88:89]
	v_mov_b32_e32 v35, v56
	v_pk_add_f32 v[70:71], v[64:65], v[78:79] neg_lo:[0,1] neg_hi:[0,1]
	s_movk_i32 s17, 0x2000
	v_mov_b32_e32 v45, v42
	v_pk_add_f32 v[64:65], v[64:65], v[78:79]
	v_mov_b32_e32 v78, v70
	v_add_co_u32_e32 v70, vcc, s17, v54
	v_mov_b32_e32 v31, v28
	v_mov_b32_e32 v79, v65
	;; [unrolled: 1-line block ×3, first 2 shown]
	v_addc_co_u32_e32 v71, vcc, 0, v55, vcc
	s_movk_i32 s17, 0x3000
	v_add_co_u32_e32 v54, vcc, s17, v54
	v_mov_b32_e32 v41, 0
	v_mov_b32_e32 v93, v91
	v_addc_co_u32_e32 v55, vcc, 0, v55, vcc
	v_mov_b32_e32 v69, v75
	global_store_dwordx2 v[54:55], v[92:93], off offset:1536
	global_store_dwordx2 v[70:71], v[64:65], off offset:1024
	v_mov_b32_e32 v65, v41
	s_waitcnt vmcnt(6)
	v_mul_f32_e32 v16, v42, v5
	v_mul_f32_e32 v72, v32, v7
	v_fma_f32 v43, v28, v4, -v16
	s_waitcnt vmcnt(5)
	v_mov_b32_e32 v85, v58
	v_mov_b32_e32 v83, v59
	v_pk_mul_f32 v[50:51], v[50:51], v[84:85]
	v_pk_fma_f32 v[0:1], v[36:37], v[0:1], v[50:51] neg_lo:[0,0,1] neg_hi:[0,0,1]
	v_pk_fma_f32 v[36:37], v[36:37], v[82:83], v[50:51]
	v_mov_b32_e32 v82, v7
	v_mov_b32_e32 v83, v60
	v_mul_f32_e32 v16, v11, v3
	v_fmac_f32_e32 v72, v48, v6
	v_mov_b32_e32 v50, v6
	v_mov_b32_e32 v51, v61
	v_pk_mul_f32 v[48:49], v[48:49], v[82:83]
	v_mov_b32_e32 v82, v59
	v_mov_b32_e32 v83, v2
	v_fma_f32 v57, v56, v2, -v16
	v_add_u32_e32 v16, 0x70, v52
	v_pk_fma_f32 v[6:7], v[32:33], v[6:7], v[48:49] neg_lo:[0,0,1] neg_hi:[0,0,1]
	v_pk_fma_f32 v[32:33], v[32:33], v[50:51], v[48:49]
	v_mov_b32_e32 v50, v58
	v_mov_b32_e32 v51, v3
	v_pk_mul_f32 v[2:3], v[46:47], v[82:83]
	v_mul_hi_u32 v18, v16, s3
	v_pk_fma_f32 v[46:47], v[34:35], v[58:59], v[2:3] neg_lo:[0,0,1] neg_hi:[0,0,1]
	v_pk_fma_f32 v[2:3], v[34:35], v[50:51], v[2:3]
	v_mov_b32_e32 v50, v61
	v_mov_b32_e32 v51, v4
	v_lshrrev_b32_e32 v18, 6, v18
	v_mov_b32_e32 v34, v60
	v_mov_b32_e32 v35, v5
	v_pk_mul_f32 v[4:5], v[44:45], v[50:51]
	v_mul_u32_u24_e32 v27, 0x120, v18
	v_pk_fma_f32 v[44:45], v[30:31], v[34:35], v[4:5] neg_lo:[0,0,1] neg_hi:[0,0,1]
	v_pk_fma_f32 v[4:5], v[30:31], v[34:35], v[4:5]
	v_sub_u32_e32 v16, v16, v27
	s_movk_i32 s3, 0x7e0
	v_mov_b32_e32 v1, v37
	v_mov_b32_e32 v7, v33
	;; [unrolled: 1-line block ×4, first 2 shown]
	v_mad_u32_u24 v40, v18, s3, v16
	v_pk_add_f32 v[48:49], v[6:7], v[0:1] neg_lo:[0,1] neg_hi:[0,1]
	v_pk_add_f32 v[30:31], v[44:45], v[46:47]
	v_pk_add_f32 v[0:1], v[6:7], v[0:1]
	v_mov_b32_e32 v73, v44
	v_mov_b32_e32 v63, v46
	v_lshlrev_b64 v[54:55], 3, v[40:41]
	v_mov_b32_e32 v75, v1
	v_pk_add_f32 v[50:51], v[30:31], v[0:1] neg_lo:[0,1] neg_hi:[0,1]
	v_mov_b32_e32 v61, v1
	v_mov_b32_e32 v2, v3
	;; [unrolled: 1-line block ×3, first 2 shown]
	v_pk_add_f32 v[44:45], v[72:73], v[62:63] neg_lo:[0,1] neg_hi:[0,1]
	v_mov_b32_e32 v4, v5
	v_mov_b32_e32 v1, v48
	v_add_co_u32_e32 v54, vcc, v29, v54
	v_add_u32_e32 v64, 0x120, v40
	v_pk_add_f32 v[2:3], v[4:5], v[2:3] neg_lo:[0,1] neg_hi:[0,1]
	v_pk_add_f32 v[4:5], v[44:45], v[0:1]
	v_mov_b32_e32 v42, v33
	v_mov_b32_e32 v56, v37
	v_add_f32_e32 v67, v72, v62
	v_add_f32_e32 v74, v43, v57
	v_addc_co_u32_e32 v55, vcc, v39, v55, vcc
	v_lshlrev_b64 v[64:65], 3, v[64:65]
	v_mov_b32_e32 v3, v5
	v_pk_add_f32 v[4:5], v[42:43], v[56:57] neg_lo:[0,1] neg_hi:[0,1]
	global_store_dwordx2 v[70:71], v[68:69], off offset:3328
	v_add_co_u32_e32 v64, vcc, v29, v64
	v_add_u32_e32 v68, 0x240, v40
	v_mov_b32_e32 v69, v41
	v_add_f32_e32 v35, v31, v67
	v_mov_b32_e32 v66, v30
	v_add_f32_e32 v60, v74, v0
	v_mov_b32_e32 v34, v30
	v_mov_b32_e32 v32, v2
	;; [unrolled: 1-line block ×5, first 2 shown]
	v_addc_co_u32_e32 v65, vcc, v39, v65, vcc
	v_lshlrev_b64 v[68:69], 3, v[68:69]
	v_pk_add_f32 v[6:7], v[74:75], v[66:67] neg_lo:[0,1] neg_hi:[0,1]
	v_pk_add_f32 v[34:35], v[60:61], v[34:35]
	v_mov_b32_e32 v27, v38
	v_pk_add_f32 v[32:33], v[32:33], v[36:37] neg_lo:[0,1] neg_hi:[0,1]
	v_pk_add_f32 v[46:47], v[4:5], v[44:45]
	v_add_co_u32_e32 v68, vcc, v29, v68
	v_add_u32_e32 v70, 0x360, v40
	v_mov_b32_e32 v71, v41
	v_pk_mul_f32 v[6:7], v[6:7], s[10:11]
	v_pk_add_f32 v[26:27], v[26:27], v[34:35]
	v_pk_mul_f32 v[32:33], v[32:33], s[6:7]
	v_pk_add_f32 v[36:37], v[4:5], v[44:45] neg_lo:[0,1] neg_hi:[0,1]
	v_mov_b32_e32 v47, v5
	v_addc_co_u32_e32 v69, vcc, v39, v69, vcc
	v_lshlrev_b64 v[70:71], 3, v[70:71]
	v_pk_mul_f32 v[58:59], v[50:51], s[12:13]
	v_pk_fma_f32 v[50:51], v[50:51], s[12:13], v[6:7]
	v_pk_fma_f32 v[34:35], v[34:35], s[18:19], v[26:27] op_sel_hi:[1,0,1] neg_lo:[1,0,0] neg_hi:[1,0,0]
	v_pk_mul_f32 v[42:43], v[36:37], s[4:5]
	v_pk_fma_f32 v[36:37], v[36:37], s[4:5], v[32:33]
	v_pk_add_f32 v[46:47], v[46:47], v[2:3]
	global_store_dwordx2 v[76:77], v[78:79], off offset:2816
	v_add_co_u32_e32 v70, vcc, v29, v70
	v_add_u32_e32 v76, 0x480, v40
	v_mov_b32_e32 v77, v41
	v_pk_add_f32 v[50:51], v[50:51], v[34:35]
	v_pk_fma_f32 v[36:37], v[46:47], s[2:3], v[36:37] op_sel_hi:[1,0,1]
	v_addc_co_u32_e32 v71, vcc, v39, v71, vcc
	v_lshlrev_b64 v[76:77], 3, v[76:77]
	v_pk_add_f32 v[56:57], v[50:51], v[36:37] neg_lo:[0,1] neg_hi:[0,1]
	v_pk_add_f32 v[36:37], v[50:51], v[36:37]
	v_add_co_u32_e32 v76, vcc, v29, v76
	v_add_u32_e32 v78, 0x5a0, v40
	v_mov_b32_e32 v79, v41
	global_store_dwordx2 v[54:55], v[26:27], off
	v_mov_b32_e32 v26, v36
	v_mov_b32_e32 v27, v57
	;; [unrolled: 1-line block ×6, first 2 shown]
	v_addc_co_u32_e32 v77, vcc, v39, v77, vcc
	v_lshlrev_b64 v[78:79], 3, v[78:79]
	global_store_dwordx2 v[64:65], v[26:27], off
	v_mov_b32_e32 v26, v6
	v_mov_b32_e32 v27, v59
	v_pk_add_f32 v[0:1], v[0:1], v[74:75] neg_lo:[0,1] neg_hi:[0,1]
	v_pk_add_f32 v[2:3], v[44:45], v[2:3] neg_lo:[0,1] neg_hi:[0,1]
	v_mov_b32_e32 v4, v32
	v_mov_b32_e32 v5, v43
	;; [unrolled: 1-line block ×4, first 2 shown]
	v_add_co_u32_e32 v78, vcc, v29, v78
	v_add_u32_e32 v40, 0x6c0, v40
	v_pk_fma_f32 v[26:27], v[0:1], s[14:15], v[26:27] op_sel_hi:[1,0,1] neg_lo:[1,0,1] neg_hi:[1,0,1]
	v_pk_fma_f32 v[4:5], v[2:3], s[16:17], v[4:5] op_sel_hi:[1,0,1] neg_lo:[1,0,1] neg_hi:[1,0,1]
	;; [unrolled: 1-line block ×4, first 2 shown]
	v_addc_co_u32_e32 v79, vcc, v39, v79, vcc
	v_lshlrev_b64 v[80:81], 3, v[40:41]
	v_pk_fma_f32 v[2:3], v[46:47], s[2:3], v[2:3] op_sel_hi:[1,0,1]
	v_pk_add_f32 v[0:1], v[0:1], v[34:35]
	v_add_co_u32_e32 v80, vcc, v29, v80
	v_pk_add_f32 v[26:27], v[26:27], v[34:35]
	v_pk_fma_f32 v[4:5], v[46:47], s[2:3], v[4:5] op_sel_hi:[1,0,1]
	v_pk_add_f32 v[6:7], v[0:1], v[2:3]
	v_pk_add_f32 v[0:1], v[0:1], v[2:3] neg_lo:[0,1] neg_hi:[0,1]
	v_addc_co_u32_e32 v81, vcc, v39, v81, vcc
	v_pk_add_f32 v[30:31], v[26:27], v[4:5] neg_lo:[0,1] neg_hi:[0,1]
	v_pk_add_f32 v[4:5], v[26:27], v[4:5]
	v_mov_b32_e32 v2, v0
	v_add_u32_e32 v0, 0xe0, v52
	v_mov_b32_e32 v26, v4
	v_mov_b32_e32 v27, v31
	;; [unrolled: 1-line block ×6, first 2 shown]
	v_cmp_gt_u32_e32 vcc, s15, v0
	global_store_dwordx2 v[68:69], v[26:27], off
	global_store_dwordx2 v[70:71], v[2:3], off
	;; [unrolled: 1-line block ×5, first 2 shown]
	s_and_b64 exec, exec, vcc
	s_cbranch_execz .LBB0_24
; %bb.23:
	v_subrev_u32_e32 v1, 64, v52
	v_cndmask_b32_e64 v1, v1, v24, s[0:1]
	v_mul_lo_u32 v40, v1, 6
	v_lshlrev_b64 v[2:3], 3, v[40:41]
	v_mov_b32_e32 v1, s9
	v_add_co_u32_e32 v6, vcc, s8, v2
	v_addc_co_u32_e32 v7, vcc, v1, v3, vcc
	global_load_dwordx4 v[2:5], v[6:7], off offset:2288
	global_load_dwordx4 v[30:33], v[6:7], off offset:2304
	;; [unrolled: 1-line block ×3, first 2 shown]
	v_mov_b32_e32 v11, v13
	v_mov_b32_e32 v24, v23
	;; [unrolled: 1-line block ×5, first 2 shown]
	s_mov_b32 s0, 0xbf955555
	v_add_u32_e32 v40, 0x200, v52
	s_waitcnt vmcnt(2)
	v_mov_b32_e32 v26, v5
	s_waitcnt vmcnt(1)
	v_mov_b32_e32 v27, v30
	v_mov_b32_e32 v42, v33
	s_waitcnt vmcnt(0)
	v_mov_b32_e32 v43, v34
	v_mul_f32_e32 v44, v12, v3
	v_mul_f32_e32 v1, v25, v35
	v_mul_f32_e32 v46, v14, v37
	v_mul_f32_e32 v5, v19, v5
	v_mov_b32_e32 v50, v3
	v_mov_b32_e32 v51, v30
	;; [unrolled: 1-line block ×10, first 2 shown]
	v_fmac_f32_e32 v44, v20, v2
	v_fmac_f32_e32 v46, v22, v36
	v_fma_f32 v5, v10, v4, -v5
	v_pk_mul_f32 v[10:11], v[10:11], v[26:27]
	v_pk_mul_f32 v[20:21], v[20:21], v[50:51]
	v_fma_f32 v7, v17, v34, -v1
	v_pk_mul_f32 v[24:25], v[24:25], v[42:43]
	v_mov_b32_e32 v34, v32
	v_pk_mul_f32 v[22:23], v[22:23], v[54:55]
	v_pk_fma_f32 v[36:37], v[18:19], v[28:29], v[10:11] op_sel:[0,0,1] op_sel_hi:[1,1,0] neg_lo:[1,0,0] neg_hi:[1,0,0]
	v_pk_fma_f32 v[10:11], v[18:19], v[48:49], v[10:11] op_sel:[0,0,1] op_sel_hi:[1,1,0]
	v_pk_fma_f32 v[18:19], v[12:13], v[2:3], v[20:21] neg_lo:[0,0,1] neg_hi:[0,0,1]
	v_pk_fma_f32 v[2:3], v[12:13], v[2:3], v[20:21]
	v_pk_fma_f32 v[12:13], v[6:7], v[32:33], v[24:25] op_sel_hi:[0,1,1] neg_lo:[0,0,1] neg_hi:[0,0,1]
	v_pk_fma_f32 v[16:17], v[16:17], v[34:35], v[24:25]
	v_pk_fma_f32 v[20:21], v[14:15], v[30:31], v[22:23] neg_lo:[0,0,1] neg_hi:[0,0,1]
	v_pk_fma_f32 v[14:15], v[14:15], v[30:31], v[22:23]
	v_mov_b32_e32 v37, v11
	v_mov_b32_e32 v19, v3
	;; [unrolled: 1-line block ×12, first 2 shown]
	v_add_f32_e32 v27, v44, v46
	v_add_f32_e32 v2, v5, v7
	v_pk_add_f32 v[16:17], v[44:45], v[46:47] neg_lo:[0,1] neg_hi:[0,1]
	v_pk_add_f32 v[4:5], v[4:5], v[6:7] neg_lo:[0,1] neg_hi:[0,1]
	v_pk_add_f32 v[6:7], v[36:37], v[12:13]
	v_pk_add_f32 v[12:13], v[18:19], v[20:21]
	v_pk_add_f32 v[10:11], v[10:11], v[14:15] neg_lo:[0,1] neg_hi:[0,1]
	v_add_f32_e32 v14, v2, v12
	v_add_f32_e32 v19, v7, v27
	v_mov_b32_e32 v26, v6
	v_mov_b32_e32 v3, v13
	v_pk_add_f32 v[22:23], v[10:11], v[4:5]
	v_mov_b32_e32 v24, v10
	v_mov_b32_e32 v25, v17
	;; [unrolled: 1-line block ×10, first 2 shown]
	v_pk_add_f32 v[20:21], v[12:13], v[6:7] neg_lo:[0,1] neg_hi:[0,1]
	v_pk_add_f32 v[34:35], v[26:27], v[2:3] neg_lo:[0,1] neg_hi:[0,1]
	;; [unrolled: 1-line block ×4, first 2 shown]
	v_pk_add_f32 v[14:15], v[14:15], v[18:19]
	v_lshlrev_b64 v[0:1], 3, v[0:1]
	v_pk_add_f32 v[18:19], v[22:23], v[16:17]
	v_pk_add_f32 v[8:9], v[8:9], v[14:15]
	v_pk_mul_f32 v[22:23], v[34:35], s[12:13]
	v_pk_mul_f32 v[30:31], v[20:21], s[10:11]
	v_pk_mul_f32 v[32:33], v[10:11], s[6:7]
	v_pk_mul_f32 v[24:25], v[24:25], s[4:5]
	v_mov_b32_e32 v3, v7
	v_mov_b32_e32 v13, v27
	v_add_co_u32_e32 v0, vcc, v29, v0
	v_pk_fma_f32 v[14:15], v[14:15], s[0:1], v[8:9] op_sel_hi:[1,0,1]
	v_pk_fma_f32 v[20:21], v[20:21], s[10:11], v[22:23]
	v_pk_fma_f32 v[10:11], v[10:11], s[6:7], v[24:25]
	v_pk_add_f32 v[2:3], v[2:3], v[12:13] neg_lo:[0,1] neg_hi:[0,1]
	v_pk_add_f32 v[4:5], v[4:5], v[16:17] neg_lo:[0,1] neg_hi:[0,1]
	v_mov_b32_e32 v6, v30
	v_mov_b32_e32 v7, v23
	;; [unrolled: 1-line block ×6, first 2 shown]
	v_addc_co_u32_e32 v1, vcc, v39, v1, vcc
	v_pk_add_f32 v[20:21], v[20:21], v[14:15]
	v_pk_fma_f32 v[10:11], v[18:19], s[2:3], v[10:11] op_sel_hi:[1,0,1]
	v_pk_fma_f32 v[6:7], v[2:3], s[14:15], v[6:7] op_sel_hi:[1,0,1] neg_lo:[1,0,1] neg_hi:[1,0,1]
	v_pk_fma_f32 v[12:13], v[4:5], s[16:17], v[12:13] op_sel_hi:[1,0,1] neg_lo:[1,0,1] neg_hi:[1,0,1]
	;; [unrolled: 1-line block ×4, first 2 shown]
	global_store_dwordx2 v[0:1], v[8:9], off
	v_lshlrev_b64 v[0:1], 3, v[40:41]
	v_pk_add_f32 v[6:7], v[6:7], v[14:15]
	v_pk_add_f32 v[2:3], v[2:3], v[14:15]
	v_pk_fma_f32 v[4:5], v[18:19], s[2:3], v[4:5] op_sel_hi:[1,0,1]
	v_pk_fma_f32 v[12:13], v[18:19], s[2:3], v[12:13] op_sel_hi:[1,0,1]
	v_pk_add_f32 v[14:15], v[20:21], v[10:11]
	v_pk_add_f32 v[10:11], v[20:21], v[10:11] neg_lo:[0,1] neg_hi:[0,1]
	v_add_co_u32_e32 v0, vcc, v29, v0
	v_pk_add_f32 v[16:17], v[6:7], v[12:13]
	v_pk_add_f32 v[6:7], v[6:7], v[12:13] neg_lo:[0,1] neg_hi:[0,1]
	v_pk_add_f32 v[12:13], v[2:3], v[4:5] neg_lo:[0,1] neg_hi:[0,1]
	v_pk_add_f32 v[2:3], v[2:3], v[4:5]
	v_addc_co_u32_e32 v1, vcc, v39, v1, vcc
	v_mov_b32_e32 v4, v14
	v_mov_b32_e32 v5, v11
	v_add_u32_e32 v40, 0x320, v52
	global_store_dwordx2 v[0:1], v[4:5], off
	v_lshlrev_b64 v[0:1], 3, v[40:41]
	v_add_co_u32_e32 v0, vcc, v29, v0
	v_addc_co_u32_e32 v1, vcc, v39, v1, vcc
	v_mov_b32_e32 v4, v16
	v_mov_b32_e32 v5, v7
	v_add_u32_e32 v40, 0x440, v52
	global_store_dwordx2 v[0:1], v[4:5], off
	v_lshlrev_b64 v[0:1], 3, v[40:41]
	v_add_co_u32_e32 v0, vcc, v29, v0
	;; [unrolled: 7-line block ×3, first 2 shown]
	v_addc_co_u32_e32 v1, vcc, v39, v1, vcc
	v_mov_b32_e32 v3, v13
	v_add_u32_e32 v40, 0x680, v52
	global_store_dwordx2 v[0:1], v[2:3], off
	v_lshlrev_b64 v[0:1], 3, v[40:41]
	v_add_co_u32_e32 v0, vcc, v29, v0
	v_addc_co_u32_e32 v1, vcc, v39, v1, vcc
	v_mov_b32_e32 v7, v17
	v_add_u32_e32 v40, 0x7a0, v52
	global_store_dwordx2 v[0:1], v[6:7], off
	v_lshlrev_b64 v[0:1], 3, v[40:41]
	v_add_co_u32_e32 v0, vcc, v29, v0
	v_addc_co_u32_e32 v1, vcc, v39, v1, vcc
	v_mov_b32_e32 v11, v15
	global_store_dwordx2 v[0:1], v[10:11], off
	s_endpgm
.LBB0_24:
	s_endpgm
	.section	.rodata,"a",@progbits
	.p2align	6, 0x0
	.amdhsa_kernel fft_rtc_fwd_len2016_factors_2_2_2_2_2_3_3_7_wgs_224_tpt_112_halfLds_sp_op_CI_CI_unitstride_sbrr_dirReg
		.amdhsa_group_segment_fixed_size 0
		.amdhsa_private_segment_fixed_size 0
		.amdhsa_kernarg_size 104
		.amdhsa_user_sgpr_count 6
		.amdhsa_user_sgpr_private_segment_buffer 1
		.amdhsa_user_sgpr_dispatch_ptr 0
		.amdhsa_user_sgpr_queue_ptr 0
		.amdhsa_user_sgpr_kernarg_segment_ptr 1
		.amdhsa_user_sgpr_dispatch_id 0
		.amdhsa_user_sgpr_flat_scratch_init 0
		.amdhsa_user_sgpr_kernarg_preload_length 0
		.amdhsa_user_sgpr_kernarg_preload_offset 0
		.amdhsa_user_sgpr_private_segment_size 0
		.amdhsa_uses_dynamic_stack 0
		.amdhsa_system_sgpr_private_segment_wavefront_offset 0
		.amdhsa_system_sgpr_workgroup_id_x 1
		.amdhsa_system_sgpr_workgroup_id_y 0
		.amdhsa_system_sgpr_workgroup_id_z 0
		.amdhsa_system_sgpr_workgroup_info 0
		.amdhsa_system_vgpr_workitem_id 0
		.amdhsa_next_free_vgpr 95
		.amdhsa_next_free_sgpr 28
		.amdhsa_accum_offset 96
		.amdhsa_reserve_vcc 1
		.amdhsa_reserve_flat_scratch 0
		.amdhsa_float_round_mode_32 0
		.amdhsa_float_round_mode_16_64 0
		.amdhsa_float_denorm_mode_32 3
		.amdhsa_float_denorm_mode_16_64 3
		.amdhsa_dx10_clamp 1
		.amdhsa_ieee_mode 1
		.amdhsa_fp16_overflow 0
		.amdhsa_tg_split 0
		.amdhsa_exception_fp_ieee_invalid_op 0
		.amdhsa_exception_fp_denorm_src 0
		.amdhsa_exception_fp_ieee_div_zero 0
		.amdhsa_exception_fp_ieee_overflow 0
		.amdhsa_exception_fp_ieee_underflow 0
		.amdhsa_exception_fp_ieee_inexact 0
		.amdhsa_exception_int_div_zero 0
	.end_amdhsa_kernel
	.text
.Lfunc_end0:
	.size	fft_rtc_fwd_len2016_factors_2_2_2_2_2_3_3_7_wgs_224_tpt_112_halfLds_sp_op_CI_CI_unitstride_sbrr_dirReg, .Lfunc_end0-fft_rtc_fwd_len2016_factors_2_2_2_2_2_3_3_7_wgs_224_tpt_112_halfLds_sp_op_CI_CI_unitstride_sbrr_dirReg
                                        ; -- End function
	.section	.AMDGPU.csdata,"",@progbits
; Kernel info:
; codeLenInByte = 12940
; NumSgprs: 32
; NumVgprs: 95
; NumAgprs: 0
; TotalNumVgprs: 95
; ScratchSize: 0
; MemoryBound: 0
; FloatMode: 240
; IeeeMode: 1
; LDSByteSize: 0 bytes/workgroup (compile time only)
; SGPRBlocks: 3
; VGPRBlocks: 11
; NumSGPRsForWavesPerEU: 32
; NumVGPRsForWavesPerEU: 95
; AccumOffset: 96
; Occupancy: 5
; WaveLimiterHint : 1
; COMPUTE_PGM_RSRC2:SCRATCH_EN: 0
; COMPUTE_PGM_RSRC2:USER_SGPR: 6
; COMPUTE_PGM_RSRC2:TRAP_HANDLER: 0
; COMPUTE_PGM_RSRC2:TGID_X_EN: 1
; COMPUTE_PGM_RSRC2:TGID_Y_EN: 0
; COMPUTE_PGM_RSRC2:TGID_Z_EN: 0
; COMPUTE_PGM_RSRC2:TIDIG_COMP_CNT: 0
; COMPUTE_PGM_RSRC3_GFX90A:ACCUM_OFFSET: 23
; COMPUTE_PGM_RSRC3_GFX90A:TG_SPLIT: 0
	.text
	.p2alignl 6, 3212836864
	.fill 256, 4, 3212836864
	.type	__hip_cuid_25cf9f139d7fdb84,@object ; @__hip_cuid_25cf9f139d7fdb84
	.section	.bss,"aw",@nobits
	.globl	__hip_cuid_25cf9f139d7fdb84
__hip_cuid_25cf9f139d7fdb84:
	.byte	0                               ; 0x0
	.size	__hip_cuid_25cf9f139d7fdb84, 1

	.ident	"AMD clang version 19.0.0git (https://github.com/RadeonOpenCompute/llvm-project roc-6.4.0 25133 c7fe45cf4b819c5991fe208aaa96edf142730f1d)"
	.section	".note.GNU-stack","",@progbits
	.addrsig
	.addrsig_sym __hip_cuid_25cf9f139d7fdb84
	.amdgpu_metadata
---
amdhsa.kernels:
  - .agpr_count:     0
    .args:
      - .actual_access:  read_only
        .address_space:  global
        .offset:         0
        .size:           8
        .value_kind:     global_buffer
      - .offset:         8
        .size:           8
        .value_kind:     by_value
      - .actual_access:  read_only
        .address_space:  global
        .offset:         16
        .size:           8
        .value_kind:     global_buffer
      - .actual_access:  read_only
        .address_space:  global
        .offset:         24
        .size:           8
        .value_kind:     global_buffer
      - .actual_access:  read_only
        .address_space:  global
        .offset:         32
        .size:           8
        .value_kind:     global_buffer
      - .offset:         40
        .size:           8
        .value_kind:     by_value
      - .actual_access:  read_only
        .address_space:  global
        .offset:         48
        .size:           8
        .value_kind:     global_buffer
      - .actual_access:  read_only
        .address_space:  global
        .offset:         56
        .size:           8
        .value_kind:     global_buffer
      - .offset:         64
        .size:           4
        .value_kind:     by_value
      - .actual_access:  read_only
        .address_space:  global
        .offset:         72
        .size:           8
        .value_kind:     global_buffer
      - .actual_access:  read_only
        .address_space:  global
        .offset:         80
        .size:           8
        .value_kind:     global_buffer
      - .actual_access:  read_only
        .address_space:  global
        .offset:         88
        .size:           8
        .value_kind:     global_buffer
      - .actual_access:  write_only
        .address_space:  global
        .offset:         96
        .size:           8
        .value_kind:     global_buffer
    .group_segment_fixed_size: 0
    .kernarg_segment_align: 8
    .kernarg_segment_size: 104
    .language:       OpenCL C
    .language_version:
      - 2
      - 0
    .max_flat_workgroup_size: 224
    .name:           fft_rtc_fwd_len2016_factors_2_2_2_2_2_3_3_7_wgs_224_tpt_112_halfLds_sp_op_CI_CI_unitstride_sbrr_dirReg
    .private_segment_fixed_size: 0
    .sgpr_count:     32
    .sgpr_spill_count: 0
    .symbol:         fft_rtc_fwd_len2016_factors_2_2_2_2_2_3_3_7_wgs_224_tpt_112_halfLds_sp_op_CI_CI_unitstride_sbrr_dirReg.kd
    .uniform_work_group_size: 1
    .uses_dynamic_stack: false
    .vgpr_count:     95
    .vgpr_spill_count: 0
    .wavefront_size: 64
amdhsa.target:   amdgcn-amd-amdhsa--gfx90a
amdhsa.version:
  - 1
  - 2
...

	.end_amdgpu_metadata
